;; amdgpu-corpus repo=ROCm/rocFFT kind=compiled arch=gfx906 opt=O3
	.text
	.amdgcn_target "amdgcn-amd-amdhsa--gfx906"
	.amdhsa_code_object_version 6
	.protected	fft_rtc_back_len3200_factors_10_10_4_4_2_wgs_160_tpt_160_halfLds_half_ip_CI_unitstride_sbrr_dirReg ; -- Begin function fft_rtc_back_len3200_factors_10_10_4_4_2_wgs_160_tpt_160_halfLds_half_ip_CI_unitstride_sbrr_dirReg
	.globl	fft_rtc_back_len3200_factors_10_10_4_4_2_wgs_160_tpt_160_halfLds_half_ip_CI_unitstride_sbrr_dirReg
	.p2align	8
	.type	fft_rtc_back_len3200_factors_10_10_4_4_2_wgs_160_tpt_160_halfLds_half_ip_CI_unitstride_sbrr_dirReg,@function
fft_rtc_back_len3200_factors_10_10_4_4_2_wgs_160_tpt_160_halfLds_half_ip_CI_unitstride_sbrr_dirReg: ; @fft_rtc_back_len3200_factors_10_10_4_4_2_wgs_160_tpt_160_halfLds_half_ip_CI_unitstride_sbrr_dirReg
; %bb.0:
	s_load_dwordx2 s[2:3], s[4:5], 0x50
	s_load_dwordx4 s[8:11], s[4:5], 0x0
	s_load_dwordx2 s[12:13], s[4:5], 0x18
	v_mul_u32_u24_e32 v1, 0x19a, v0
	v_add_u32_sdwa v5, s6, v1 dst_sel:DWORD dst_unused:UNUSED_PAD src0_sel:DWORD src1_sel:WORD_1
	v_mov_b32_e32 v3, 0
	s_waitcnt lgkmcnt(0)
	v_cmp_lt_u64_e64 s[0:1], s[10:11], 2
	v_mov_b32_e32 v1, 0
	v_mov_b32_e32 v6, v3
	s_and_b64 vcc, exec, s[0:1]
	v_mov_b32_e32 v2, 0
	s_cbranch_vccnz .LBB0_8
; %bb.1:
	s_load_dwordx2 s[0:1], s[4:5], 0x10
	s_add_u32 s6, s12, 8
	s_addc_u32 s7, s13, 0
	v_mov_b32_e32 v1, 0
	v_mov_b32_e32 v2, 0
	s_waitcnt lgkmcnt(0)
	s_add_u32 s14, s0, 8
	s_addc_u32 s15, s1, 0
	s_mov_b64 s[16:17], 1
.LBB0_2:                                ; =>This Inner Loop Header: Depth=1
	s_load_dwordx2 s[18:19], s[14:15], 0x0
                                        ; implicit-def: $vgpr7_vgpr8
	s_waitcnt lgkmcnt(0)
	v_or_b32_e32 v4, s19, v6
	v_cmp_ne_u64_e32 vcc, 0, v[3:4]
	s_and_saveexec_b64 s[0:1], vcc
	s_xor_b64 s[20:21], exec, s[0:1]
	s_cbranch_execz .LBB0_4
; %bb.3:                                ;   in Loop: Header=BB0_2 Depth=1
	v_cvt_f32_u32_e32 v4, s18
	v_cvt_f32_u32_e32 v7, s19
	s_sub_u32 s0, 0, s18
	s_subb_u32 s1, 0, s19
	v_mac_f32_e32 v4, 0x4f800000, v7
	v_rcp_f32_e32 v4, v4
	v_mul_f32_e32 v4, 0x5f7ffffc, v4
	v_mul_f32_e32 v7, 0x2f800000, v4
	v_trunc_f32_e32 v7, v7
	v_mac_f32_e32 v4, 0xcf800000, v7
	v_cvt_u32_f32_e32 v7, v7
	v_cvt_u32_f32_e32 v4, v4
	v_mul_lo_u32 v8, s0, v7
	v_mul_hi_u32 v9, s0, v4
	v_mul_lo_u32 v11, s1, v4
	v_mul_lo_u32 v10, s0, v4
	v_add_u32_e32 v8, v9, v8
	v_add_u32_e32 v8, v8, v11
	v_mul_hi_u32 v9, v4, v10
	v_mul_lo_u32 v11, v4, v8
	v_mul_hi_u32 v13, v4, v8
	v_mul_hi_u32 v12, v7, v10
	v_mul_lo_u32 v10, v7, v10
	v_mul_hi_u32 v14, v7, v8
	v_add_co_u32_e32 v9, vcc, v9, v11
	v_addc_co_u32_e32 v11, vcc, 0, v13, vcc
	v_mul_lo_u32 v8, v7, v8
	v_add_co_u32_e32 v9, vcc, v9, v10
	v_addc_co_u32_e32 v9, vcc, v11, v12, vcc
	v_addc_co_u32_e32 v10, vcc, 0, v14, vcc
	v_add_co_u32_e32 v8, vcc, v9, v8
	v_addc_co_u32_e32 v9, vcc, 0, v10, vcc
	v_add_co_u32_e32 v4, vcc, v4, v8
	v_addc_co_u32_e32 v7, vcc, v7, v9, vcc
	v_mul_lo_u32 v8, s0, v7
	v_mul_hi_u32 v9, s0, v4
	v_mul_lo_u32 v10, s1, v4
	v_mul_lo_u32 v11, s0, v4
	v_add_u32_e32 v8, v9, v8
	v_add_u32_e32 v8, v8, v10
	v_mul_lo_u32 v12, v4, v8
	v_mul_hi_u32 v13, v4, v11
	v_mul_hi_u32 v14, v4, v8
	;; [unrolled: 1-line block ×3, first 2 shown]
	v_mul_lo_u32 v11, v7, v11
	v_mul_hi_u32 v9, v7, v8
	v_add_co_u32_e32 v12, vcc, v13, v12
	v_addc_co_u32_e32 v13, vcc, 0, v14, vcc
	v_mul_lo_u32 v8, v7, v8
	v_add_co_u32_e32 v11, vcc, v12, v11
	v_addc_co_u32_e32 v10, vcc, v13, v10, vcc
	v_addc_co_u32_e32 v9, vcc, 0, v9, vcc
	v_add_co_u32_e32 v8, vcc, v10, v8
	v_addc_co_u32_e32 v9, vcc, 0, v9, vcc
	v_add_co_u32_e32 v4, vcc, v4, v8
	v_addc_co_u32_e32 v9, vcc, v7, v9, vcc
	v_mad_u64_u32 v[7:8], s[0:1], v5, v9, 0
	v_mul_hi_u32 v10, v5, v4
	v_add_co_u32_e32 v11, vcc, v10, v7
	v_addc_co_u32_e32 v12, vcc, 0, v8, vcc
	v_mad_u64_u32 v[7:8], s[0:1], v6, v4, 0
	v_mad_u64_u32 v[9:10], s[0:1], v6, v9, 0
	v_add_co_u32_e32 v4, vcc, v11, v7
	v_addc_co_u32_e32 v4, vcc, v12, v8, vcc
	v_addc_co_u32_e32 v7, vcc, 0, v10, vcc
	v_add_co_u32_e32 v4, vcc, v4, v9
	v_addc_co_u32_e32 v9, vcc, 0, v7, vcc
	v_mul_lo_u32 v10, s19, v4
	v_mul_lo_u32 v11, s18, v9
	v_mad_u64_u32 v[7:8], s[0:1], s18, v4, 0
	v_add3_u32 v8, v8, v11, v10
	v_sub_u32_e32 v10, v6, v8
	v_mov_b32_e32 v11, s19
	v_sub_co_u32_e32 v7, vcc, v5, v7
	v_subb_co_u32_e64 v10, s[0:1], v10, v11, vcc
	v_subrev_co_u32_e64 v11, s[0:1], s18, v7
	v_subbrev_co_u32_e64 v10, s[0:1], 0, v10, s[0:1]
	v_cmp_le_u32_e64 s[0:1], s19, v10
	v_cndmask_b32_e64 v12, 0, -1, s[0:1]
	v_cmp_le_u32_e64 s[0:1], s18, v11
	v_cndmask_b32_e64 v11, 0, -1, s[0:1]
	v_cmp_eq_u32_e64 s[0:1], s19, v10
	v_cndmask_b32_e64 v10, v12, v11, s[0:1]
	v_add_co_u32_e64 v11, s[0:1], 2, v4
	v_addc_co_u32_e64 v12, s[0:1], 0, v9, s[0:1]
	v_add_co_u32_e64 v13, s[0:1], 1, v4
	v_addc_co_u32_e64 v14, s[0:1], 0, v9, s[0:1]
	v_subb_co_u32_e32 v8, vcc, v6, v8, vcc
	v_cmp_ne_u32_e64 s[0:1], 0, v10
	v_cmp_le_u32_e32 vcc, s19, v8
	v_cndmask_b32_e64 v10, v14, v12, s[0:1]
	v_cndmask_b32_e64 v12, 0, -1, vcc
	v_cmp_le_u32_e32 vcc, s18, v7
	v_cndmask_b32_e64 v7, 0, -1, vcc
	v_cmp_eq_u32_e32 vcc, s19, v8
	v_cndmask_b32_e32 v7, v12, v7, vcc
	v_cmp_ne_u32_e32 vcc, 0, v7
	v_cndmask_b32_e64 v7, v13, v11, s[0:1]
	v_cndmask_b32_e32 v8, v9, v10, vcc
	v_cndmask_b32_e32 v7, v4, v7, vcc
.LBB0_4:                                ;   in Loop: Header=BB0_2 Depth=1
	s_andn2_saveexec_b64 s[0:1], s[20:21]
	s_cbranch_execz .LBB0_6
; %bb.5:                                ;   in Loop: Header=BB0_2 Depth=1
	v_cvt_f32_u32_e32 v4, s18
	s_sub_i32 s20, 0, s18
	v_rcp_iflag_f32_e32 v4, v4
	v_mul_f32_e32 v4, 0x4f7ffffe, v4
	v_cvt_u32_f32_e32 v4, v4
	v_mul_lo_u32 v7, s20, v4
	v_mul_hi_u32 v7, v4, v7
	v_add_u32_e32 v4, v4, v7
	v_mul_hi_u32 v4, v5, v4
	v_mul_lo_u32 v7, v4, s18
	v_add_u32_e32 v8, 1, v4
	v_sub_u32_e32 v7, v5, v7
	v_subrev_u32_e32 v9, s18, v7
	v_cmp_le_u32_e32 vcc, s18, v7
	v_cndmask_b32_e32 v7, v7, v9, vcc
	v_cndmask_b32_e32 v4, v4, v8, vcc
	v_add_u32_e32 v8, 1, v4
	v_cmp_le_u32_e32 vcc, s18, v7
	v_cndmask_b32_e32 v7, v4, v8, vcc
	v_mov_b32_e32 v8, v3
.LBB0_6:                                ;   in Loop: Header=BB0_2 Depth=1
	s_or_b64 exec, exec, s[0:1]
	v_mul_lo_u32 v4, v8, s18
	v_mul_lo_u32 v11, v7, s19
	v_mad_u64_u32 v[9:10], s[0:1], v7, s18, 0
	s_load_dwordx2 s[0:1], s[6:7], 0x0
	s_add_u32 s16, s16, 1
	v_add3_u32 v4, v10, v11, v4
	v_sub_co_u32_e32 v5, vcc, v5, v9
	v_subb_co_u32_e32 v4, vcc, v6, v4, vcc
	s_waitcnt lgkmcnt(0)
	v_mul_lo_u32 v4, s0, v4
	v_mul_lo_u32 v6, s1, v5
	v_mad_u64_u32 v[1:2], s[0:1], s0, v5, v[1:2]
	s_addc_u32 s17, s17, 0
	s_add_u32 s6, s6, 8
	v_add3_u32 v2, v6, v2, v4
	v_mov_b32_e32 v4, s10
	v_mov_b32_e32 v5, s11
	s_addc_u32 s7, s7, 0
	v_cmp_ge_u64_e32 vcc, s[16:17], v[4:5]
	s_add_u32 s14, s14, 8
	s_addc_u32 s15, s15, 0
	s_cbranch_vccnz .LBB0_9
; %bb.7:                                ;   in Loop: Header=BB0_2 Depth=1
	v_mov_b32_e32 v5, v7
	v_mov_b32_e32 v6, v8
	s_branch .LBB0_2
.LBB0_8:
	v_mov_b32_e32 v8, v6
	v_mov_b32_e32 v7, v5
.LBB0_9:
	s_lshl_b64 s[0:1], s[10:11], 3
	s_add_u32 s0, s12, s0
	s_addc_u32 s1, s13, s1
	s_load_dwordx2 s[6:7], s[0:1], 0x0
	s_load_dwordx2 s[10:11], s[4:5], 0x20
	s_waitcnt lgkmcnt(0)
	v_mad_u64_u32 v[1:2], s[0:1], s6, v7, v[1:2]
	s_mov_b32 s0, 0x199999a
	v_mul_lo_u32 v3, s6, v8
	v_mul_lo_u32 v4, s7, v7
	v_mul_hi_u32 v5, v0, s0
	v_cmp_gt_u64_e32 vcc, s[10:11], v[7:8]
	v_cmp_le_u64_e64 s[0:1], s[10:11], v[7:8]
	v_add3_u32 v2, v4, v2, v3
	v_mul_u32_u24_e32 v3, 0xa0, v5
	v_sub_u32_e32 v0, v0, v3
                                        ; implicit-def: $vgpr4
	s_and_saveexec_b64 s[4:5], s[0:1]
	s_xor_b64 s[0:1], exec, s[4:5]
; %bb.10:
	v_or_b32_e32 v4, 0x500, v0
; %bb.11:
	s_or_saveexec_b64 s[4:5], s[0:1]
	v_lshlrev_b64 v[2:3], 2, v[1:2]
                                        ; implicit-def: $vgpr39
                                        ; implicit-def: $vgpr37
                                        ; implicit-def: $vgpr26
                                        ; implicit-def: $vgpr10
                                        ; implicit-def: $vgpr40
                                        ; implicit-def: $vgpr33
                                        ; implicit-def: $vgpr12
                                        ; implicit-def: $vgpr5
                                        ; implicit-def: $vgpr41
                                        ; implicit-def: $vgpr34
                                        ; implicit-def: $vgpr24
                                        ; implicit-def: $vgpr6
                                        ; implicit-def: $vgpr42
                                        ; implicit-def: $vgpr36
                                        ; implicit-def: $vgpr25
                                        ; implicit-def: $vgpr7
                                        ; implicit-def: $vgpr43
                                        ; implicit-def: $vgpr38
                                        ; implicit-def: $vgpr27
                                        ; implicit-def: $vgpr1
                                        ; implicit-def: $vgpr28
                                        ; implicit-def: $vgpr21
                                        ; implicit-def: $vgpr14
                                        ; implicit-def: $vgpr9
                                        ; implicit-def: $vgpr29
                                        ; implicit-def: $vgpr19
                                        ; implicit-def: $vgpr15
                                        ; implicit-def: $vgpr8
                                        ; implicit-def: $vgpr30
                                        ; implicit-def: $vgpr22
                                        ; implicit-def: $vgpr16
                                        ; implicit-def: $vgpr11
                                        ; implicit-def: $vgpr31
                                        ; implicit-def: $vgpr23
                                        ; implicit-def: $vgpr18
                                        ; implicit-def: $vgpr13
                                        ; implicit-def: $vgpr35
                                        ; implicit-def: $vgpr32
                                        ; implicit-def: $vgpr20
                                        ; implicit-def: $vgpr17
	s_xor_b64 exec, exec, s[4:5]
	s_cbranch_execz .LBB0_13
; %bb.12:
	v_mov_b32_e32 v1, 0
	v_mov_b32_e32 v4, s3
	v_add_co_u32_e64 v11, s[0:1], s2, v2
	v_addc_co_u32_e64 v12, s[0:1], v4, v3, s[0:1]
	v_lshlrev_b64 v[4:5], 2, v[0:1]
	v_mov_b32_e32 v9, v1
	v_add_co_u32_e64 v14, s[0:1], v11, v4
	v_addc_co_u32_e64 v15, s[0:1], v12, v5, s[0:1]
	v_or_b32_e32 v4, 0x500, v0
	v_mov_b32_e32 v5, v1
	v_lshlrev_b64 v[5:6], 2, v[4:5]
	global_load_dword v37, v[14:15], off
	global_load_dword v10, v[14:15], off offset:1280
	global_load_dword v33, v[14:15], off offset:2560
	v_add_co_u32_e64 v7, s[0:1], v11, v5
	v_addc_co_u32_e64 v8, s[0:1], v12, v6, s[0:1]
	s_movk_i32 s0, 0x1000
	v_add_co_u32_e64 v24, s[0:1], s0, v14
	v_addc_co_u32_e64 v25, s[0:1], 0, v15, s[0:1]
	global_load_dword v5, v[14:15], off offset:3840
	global_load_dword v34, v[7:8], off
	s_movk_i32 s0, 0x2000
	v_or_b32_e32 v8, 0xa00, v0
	v_add_co_u32_e64 v26, s[0:1], s0, v14
	v_lshlrev_b64 v[8:9], 2, v[8:9]
	v_addc_co_u32_e64 v27, s[0:1], 0, v15, s[0:1]
	v_add_co_u32_e64 v28, s[0:1], v11, v8
	v_addc_co_u32_e64 v29, s[0:1], v12, v9, s[0:1]
	global_load_dword v6, v[24:25], off offset:2304
	global_load_dword v36, v[24:25], off offset:3584
	global_load_dword v7, v[26:27], off offset:768
	global_load_dword v38, v[28:29], off
	global_load_dword v1, v[26:27], off offset:3328
	global_load_dword v19, v[14:15], off offset:3200
	;; [unrolled: 1-line block ×11, first 2 shown]
	s_waitcnt vmcnt(19)
	v_lshrrev_b32_e32 v39, 16, v37
	s_waitcnt vmcnt(18)
	v_lshrrev_b32_e32 v26, 16, v10
	;; [unrolled: 2-line block ×13, first 2 shown]
	v_lshrrev_b32_e32 v24, 16, v6
	v_lshrrev_b32_e32 v42, 16, v36
	v_lshrrev_b32_e32 v25, 16, v7
	s_waitcnt vmcnt(2)
	v_lshrrev_b32_e32 v30, 16, v22
	v_lshrrev_b32_e32 v16, 16, v11
	s_waitcnt vmcnt(0)
	v_lshrrev_b32_e32 v35, 16, v32
	v_lshrrev_b32_e32 v20, 16, v17
.LBB0_13:
	s_or_b64 exec, exec, s[4:5]
	v_add_f16_e32 v44, v37, v33
	v_add_f16_e32 v44, v44, v34
	v_add_f16_e32 v44, v44, v36
	v_add_f16_e32 v45, v44, v38
	v_add_f16_e32 v44, v34, v36
	v_fma_f16 v44, v44, -0.5, v37
	v_sub_f16_e32 v46, v40, v43
	s_mov_b32 s1, 0xbb9c
	s_movk_i32 s5, 0x3b9c
	v_fma_f16 v47, v46, s1, v44
	v_sub_f16_e32 v48, v41, v42
	s_mov_b32 s0, 0xb8b4
	v_sub_f16_e32 v49, v33, v34
	v_sub_f16_e32 v50, v38, v36
	v_fma_f16 v44, v46, s5, v44
	s_movk_i32 s4, 0x38b4
	v_fma_f16 v47, v48, s0, v47
	v_add_f16_e32 v49, v49, v50
	s_movk_i32 s6, 0x34f2
	v_fma_f16 v44, v48, s4, v44
	v_fma_f16 v47, v49, s6, v47
	;; [unrolled: 1-line block ×3, first 2 shown]
	v_add_f16_e32 v44, v33, v38
	v_fma_f16 v37, v44, -0.5, v37
	v_fma_f16 v44, v48, s5, v37
	v_sub_f16_e32 v50, v34, v33
	v_sub_f16_e32 v51, v36, v38
	v_fma_f16 v44, v46, s0, v44
	v_add_f16_e32 v50, v50, v51
	v_fma_f16 v51, v50, s6, v44
	v_add_f16_e32 v44, v39, v40
	v_add_f16_e32 v44, v44, v41
	v_fma_f16 v37, v48, s1, v37
	v_add_f16_e32 v44, v44, v42
	v_fma_f16 v37, v46, s4, v37
	v_add_f16_e32 v46, v44, v43
	v_add_f16_e32 v44, v41, v42
	v_fma_f16 v44, v44, -0.5, v39
	v_sub_f16_e32 v33, v33, v38
	v_fma_f16 v38, v33, s5, v44
	v_sub_f16_e32 v34, v34, v36
	v_fma_f16 v36, v34, s4, v38
	v_sub_f16_e32 v38, v40, v41
	v_sub_f16_e32 v48, v43, v42
	v_add_f16_e32 v38, v38, v48
	v_fma_f16 v48, v38, s6, v36
	v_fma_f16 v36, v33, s1, v44
	v_fma_f16 v36, v34, s0, v36
	v_fma_f16 v37, v50, s6, v37
	v_fma_f16 v50, v38, s6, v36
	v_add_f16_e32 v36, v40, v43
	v_fma_f16 v36, v36, -0.5, v39
	v_fma_f16 v38, v34, s1, v36
	v_sub_f16_e32 v39, v41, v40
	v_sub_f16_e32 v40, v42, v43
	v_fma_f16 v34, v34, s5, v36
	v_fma_f16 v38, v33, s4, v38
	v_add_f16_e32 v39, v39, v40
	v_fma_f16 v33, v33, s0, v34
	v_fma_f16 v53, v39, s6, v33
	v_add_f16_e32 v33, v10, v5
	v_add_f16_e32 v33, v33, v6
	;; [unrolled: 1-line block ×3, first 2 shown]
	v_fma_f16 v52, v39, s6, v38
	v_add_f16_e32 v38, v33, v1
	v_add_f16_e32 v33, v6, v7
	v_fma_f16 v33, v33, -0.5, v10
	v_sub_f16_e32 v34, v12, v27
	v_fma_f16 v36, v34, s1, v33
	v_sub_f16_e32 v39, v24, v25
	v_sub_f16_e32 v40, v5, v6
	;; [unrolled: 1-line block ×3, first 2 shown]
	v_fma_f16 v33, v34, s5, v33
	v_fma_f16 v36, v39, s0, v36
	v_add_f16_e32 v40, v40, v41
	v_fma_f16 v33, v39, s4, v33
	v_fma_f16 v41, v40, s6, v36
	;; [unrolled: 1-line block ×3, first 2 shown]
	v_add_f16_e32 v33, v5, v1
	v_fma_f16 v10, v33, -0.5, v10
	v_fma_f16 v33, v39, s5, v10
	v_sub_f16_e32 v36, v6, v5
	v_sub_f16_e32 v42, v7, v1
	v_fma_f16 v33, v34, s0, v33
	v_add_f16_e32 v36, v36, v42
	v_fma_f16 v42, v36, s6, v33
	v_add_f16_e32 v33, v26, v12
	v_add_f16_e32 v33, v33, v24
	;; [unrolled: 1-line block ×5, first 2 shown]
	v_fma_f16 v10, v39, s1, v10
	v_fma_f16 v33, v33, -0.5, v26
	v_sub_f16_e32 v1, v5, v1
	v_fma_f16 v10, v34, s4, v10
	v_fma_f16 v5, v1, s5, v33
	v_sub_f16_e32 v6, v6, v7
	v_sub_f16_e32 v7, v12, v24
	;; [unrolled: 1-line block ×3, first 2 shown]
	v_fma_f16 v33, v1, s1, v33
	v_fma_f16 v5, v6, s4, v5
	v_add_f16_e32 v7, v7, v34
	v_fma_f16 v33, v6, s0, v33
	v_fma_f16 v5, v7, s6, v5
	;; [unrolled: 1-line block ×3, first 2 shown]
	v_add_f16_e32 v33, v12, v27
	v_fma_f16 v26, v33, -0.5, v26
	v_fma_f16 v33, v6, s1, v26
	v_sub_f16_e32 v12, v24, v12
	v_sub_f16_e32 v24, v25, v27
	v_fma_f16 v33, v1, s4, v33
	v_add_f16_e32 v12, v12, v24
	v_fma_f16 v6, v6, s5, v26
	v_fma_f16 v27, v12, s6, v33
	;; [unrolled: 1-line block ×3, first 2 shown]
	v_mul_f16_e32 v6, 0xb8b4, v5
	s_movk_i32 s7, 0x3a79
	v_fma_f16 v1, v12, s6, v1
	v_fma_f16 v12, v41, s7, v6
	v_mul_f16_e32 v6, 0xbb9c, v27
	v_fma_f16 v10, v36, s6, v10
	v_fma_f16 v39, v42, s6, v6
	v_mul_f16_e32 v6, 0xbb9c, v1
	s_mov_b32 s10, 0xb4f2
	v_fma_f16 v55, v10, s10, v6
	v_mul_f16_e32 v6, 0xb8b4, v7
	s_mov_b32 s11, 0xba79
	v_add_f16_e32 v43, v51, v39
	v_add_f16_e32 v44, v37, v55
	v_fma_f16 v56, v40, s11, v6
	v_mul_f16_e32 v6, 0x3b9c, v42
	v_sub_f16_e32 v42, v51, v39
	v_sub_f16_e32 v39, v37, v55
	v_add_f16_e32 v37, v21, v19
	v_add_f16_e32 v37, v37, v22
	v_add_f16_e32 v37, v37, v23
	v_add_f16_e32 v34, v45, v38
	v_mul_f16_e32 v5, 0x3a79, v5
	v_fma_f16 v57, v27, s6, v6
	v_mul_f16_e32 v6, 0xba79, v7
	v_sub_f16_e32 v38, v45, v38
	v_add_f16_e32 v45, v37, v32
	v_add_f16_e32 v37, v22, v23
	;; [unrolled: 1-line block ×3, first 2 shown]
	v_fma_f16 v5, v41, s4, v5
	v_mul_f16_e32 v1, 0xb4f2, v1
	v_fma_f16 v58, v40, s4, v6
	v_sub_f16_e32 v7, v46, v54
	v_fma_f16 v37, v37, -0.5, v21
	v_sub_f16_e32 v46, v29, v35
	v_add_f16_e32 v36, v47, v12
	v_add_f16_e32 v33, v49, v56
	;; [unrolled: 1-line block ×3, first 2 shown]
	v_fma_f16 v1, v10, s5, v1
	v_add_f16_e32 v6, v50, v58
	v_sub_f16_e32 v41, v47, v12
	v_sub_f16_e32 v40, v49, v56
	;; [unrolled: 1-line block ×4, first 2 shown]
	v_fma_f16 v47, v46, s1, v37
	v_sub_f16_e32 v48, v30, v31
	v_sub_f16_e32 v49, v19, v22
	;; [unrolled: 1-line block ×3, first 2 shown]
	v_fma_f16 v37, v46, s5, v37
	v_fma_f16 v47, v48, s0, v47
	v_add_f16_e32 v49, v49, v50
	v_fma_f16 v37, v48, s4, v37
	v_fma_f16 v47, v49, s6, v47
	;; [unrolled: 1-line block ×3, first 2 shown]
	v_add_f16_e32 v37, v19, v32
	v_fma_f16 v21, v37, -0.5, v21
	v_fma_f16 v37, v48, s5, v21
	v_sub_f16_e32 v50, v22, v19
	v_sub_f16_e32 v51, v23, v32
	v_fma_f16 v37, v46, s0, v37
	v_add_f16_e32 v50, v50, v51
	v_fma_f16 v51, v50, s6, v37
	v_add_f16_e32 v37, v28, v29
	v_add_f16_e32 v37, v37, v30
	v_fma_f16 v21, v48, s1, v21
	v_add_f16_e32 v37, v37, v31
	v_fma_f16 v21, v46, s4, v21
	v_add_f16_e32 v46, v37, v35
	v_add_f16_e32 v37, v30, v31
	v_fma_f16 v37, v37, -0.5, v28
	v_sub_f16_e32 v19, v19, v32
	v_fma_f16 v32, v19, s5, v37
	v_sub_f16_e32 v22, v22, v23
	v_fma_f16 v23, v22, s4, v32
	v_sub_f16_e32 v32, v29, v30
	v_sub_f16_e32 v48, v35, v31
	v_fma_f16 v37, v19, s1, v37
	v_add_f16_e32 v32, v32, v48
	v_fma_f16 v37, v22, s0, v37
	v_fma_f16 v23, v32, s6, v23
	;; [unrolled: 1-line block ×3, first 2 shown]
	v_add_f16_e32 v32, v29, v35
	v_fma_f16 v28, v32, -0.5, v28
	v_fma_f16 v32, v22, s1, v28
	v_sub_f16_e32 v29, v30, v29
	v_sub_f16_e32 v30, v31, v35
	v_fma_f16 v22, v22, s5, v28
	v_fma_f16 v32, v19, s4, v32
	v_add_f16_e32 v29, v29, v30
	v_fma_f16 v19, v19, s0, v22
	v_add_f16_e32 v28, v11, v13
	v_fma_f16 v21, v50, s6, v21
	v_fma_f16 v50, v29, s6, v32
	;; [unrolled: 1-line block ×3, first 2 shown]
	v_fma_f16 v28, v28, -0.5, v9
	v_sub_f16_e32 v29, v15, v20
	v_fma_f16 v30, v29, s1, v28
	v_sub_f16_e32 v31, v16, v18
	v_sub_f16_e32 v32, v8, v11
	;; [unrolled: 1-line block ×3, first 2 shown]
	v_fma_f16 v28, v29, s5, v28
	v_fma_f16 v30, v31, s0, v30
	v_add_f16_e32 v32, v32, v35
	v_fma_f16 v28, v31, s4, v28
	v_fma_f16 v30, v32, s6, v30
	;; [unrolled: 1-line block ×3, first 2 shown]
	v_add_f16_e32 v32, v8, v17
	v_add_f16_e32 v22, v9, v8
	v_fma_f16 v9, v32, -0.5, v9
	v_fma_f16 v32, v31, s5, v9
	v_fma_f16 v9, v31, s1, v9
	;; [unrolled: 1-line block ×4, first 2 shown]
	v_add_f16_e32 v29, v14, v15
	v_add_f16_e32 v29, v29, v16
	;; [unrolled: 1-line block ×4, first 2 shown]
	v_sub_f16_e32 v1, v53, v1
	v_add_f16_e32 v22, v22, v11
	v_add_f16_e32 v53, v29, v20
	;; [unrolled: 1-line block ×4, first 2 shown]
	v_sub_f16_e32 v35, v11, v8
	v_fma_f16 v29, v29, -0.5, v14
	v_sub_f16_e32 v8, v8, v17
	v_add_f16_e32 v22, v22, v17
	v_sub_f16_e32 v37, v13, v17
	v_fma_f16 v17, v8, s5, v29
	v_sub_f16_e32 v11, v11, v13
	v_fma_f16 v13, v11, s4, v17
	v_sub_f16_e32 v17, v15, v16
	v_sub_f16_e32 v31, v20, v18
	v_add_f16_e32 v17, v17, v31
	v_fma_f16 v54, v17, s6, v13
	v_fma_f16 v13, v8, s1, v29
	;; [unrolled: 1-line block ×4, first 2 shown]
	v_add_f16_e32 v13, v15, v20
	v_fma_f16 v13, v13, -0.5, v14
	v_fma_f16 v14, v11, s1, v13
	v_sub_f16_e32 v15, v16, v15
	v_sub_f16_e32 v16, v18, v20
	v_fma_f16 v14, v8, s4, v14
	v_add_f16_e32 v15, v15, v16
	v_fma_f16 v11, v11, s5, v13
	v_add_f16_e32 v35, v35, v37
	v_fma_f16 v16, v15, s6, v14
	v_fma_f16 v8, v8, s0, v11
	v_mul_f16_e32 v11, 0xb8b4, v54
	v_add_f16_e32 v26, v52, v57
	v_sub_f16_e32 v12, v52, v57
	v_fma_f16 v52, v35, s6, v32
	v_fma_f16 v8, v15, s6, v8
	;; [unrolled: 1-line block ×3, first 2 shown]
	v_mul_f16_e32 v11, 0xbb9c, v16
	v_mul_f16_e32 v14, 0x3a79, v54
	v_fma_f16 v9, v35, s6, v9
	v_fma_f16 v20, v52, s6, v11
	v_mul_f16_e32 v11, 0xbb9c, v8
	v_fma_f16 v54, v30, s4, v14
	v_add_f16_e32 v35, v51, v20
	v_fma_f16 v55, v9, s10, v11
	v_mul_f16_e32 v11, 0xb8b4, v29
	v_add_f16_e32 v14, v23, v54
	v_mul_f16_e32 v8, 0xb4f2, v8
	v_sub_f16_e32 v30, v51, v20
	v_sub_f16_e32 v20, v23, v54
	v_mul_u32_u24_e32 v23, 10, v0
	v_fma_f16 v56, v28, s11, v11
	v_fma_f16 v57, v9, s5, v8
	v_mul_f16_e32 v8, 0xba79, v29
	v_lshl_add_u32 v23, v23, 1, 0
	v_pack_b32_f16 v43, v43, v44
	v_pack_b32_f16 v34, v34, v36
	v_mul_f16_e32 v15, 0x3b9c, v52
	v_fma_f16 v58, v28, s4, v8
	v_sub_f16_e32 v8, v21, v55
	v_sub_f16_e32 v9, v49, v56
	ds_write2_b32 v23, v34, v43 offset1:1
	v_pack_b32_f16 v34, v41, v42
	v_pack_b32_f16 v33, v33, v38
	v_add_f16_e32 v31, v45, v22
	v_add_f16_e32 v32, v47, v18
	;; [unrolled: 1-line block ×4, first 2 shown]
	v_fma_f16 v52, v16, s6, v15
	v_sub_f16_e32 v28, v45, v22
	v_sub_f16_e32 v29, v47, v18
	ds_write2_b32 v23, v33, v34 offset0:2 offset1:3
	v_pack_b32_f16 v33, v39, v40
	v_pack_b32_f16 v8, v8, v9
	s_movk_i32 s12, 0xffee
	v_add_f16_e32 v13, v46, v53
	v_add_f16_e32 v15, v50, v52
	;; [unrolled: 1-line block ×3, first 2 shown]
	ds_write_b32 v23, v33 offset:16
	v_add_u32_e32 v36, 0xc80, v23
	v_pack_b32_f16 v33, v35, v37
	v_pack_b32_f16 v31, v31, v32
	v_add_u32_e32 v42, 0xc88, v23
	v_pack_b32_f16 v29, v29, v30
	v_pack_b32_f16 v11, v11, v28
	ds_write_b32 v23, v8 offset:3216
	v_mad_i32_i24 v8, v0, s12, v23
	v_pack_b32_f16 v1, v1, v5
	v_add_f16_e32 v16, v48, v58
	v_sub_f16_e32 v18, v46, v53
	v_sub_f16_e32 v22, v50, v52
	;; [unrolled: 1-line block ×3, first 2 shown]
	ds_write2_b32 v36, v31, v33 offset1:1
	ds_write2_b32 v42, v11, v29 offset1:1
	s_waitcnt lgkmcnt(0)
	s_barrier
	ds_read_u16 v28, v8
	v_lshl_add_u32 v9, v4, 1, 0
	ds_read_u16 v33, v8 offset:2240
	ds_read_u16 v43, v8 offset:1920
	;; [unrolled: 1-line block ×15, first 2 shown]
	ds_read_u16 v48, v9
	ds_read_u16 v29, v8 offset:6080
	ds_read_u16 v37, v8 offset:5760
	;; [unrolled: 1-line block ×3, first 2 shown]
	s_waitcnt lgkmcnt(0)
	s_barrier
	ds_write_b32 v23, v1 offset:16
	v_pack_b32_f16 v1, v15, v17
	v_pack_b32_f16 v5, v13, v14
	v_sub_f16_e32 v19, v19, v57
	ds_write2_b32 v36, v5, v1 offset1:1
	v_pack_b32_f16 v1, v20, v22
	v_pack_b32_f16 v5, v16, v18
	ds_write2_b32 v42, v5, v1 offset1:1
	v_pack_b32_f16 v1, v19, v21
	s_movk_i32 s12, 0xcd
	v_pack_b32_f16 v10, v10, v12
	v_pack_b32_f16 v6, v6, v7
	ds_write_b32 v23, v1 offset:3216
	v_mul_lo_u16_sdwa v1, v0, s12 dst_sel:DWORD dst_unused:UNUSED_PAD src0_sel:BYTE_0 src1_sel:DWORD
	ds_write2_b32 v23, v6, v10 offset0:2 offset1:3
	v_lshrrev_b16_e32 v6, 11, v1
	v_mul_lo_u16_e32 v1, 10, v6
	v_sub_u16_e32 v5, v0, v1
	v_mov_b32_e32 v1, 9
	v_mul_u32_u24_sdwa v1, v5, v1 dst_sel:DWORD dst_unused:UNUSED_PAD src0_sel:BYTE_0 src1_sel:DWORD
	v_pack_b32_f16 v26, v26, v27
	v_pack_b32_f16 v24, v24, v25
	v_lshlrev_b32_e32 v12, 2, v1
	ds_write2_b32 v23, v24, v26 offset1:1
	s_waitcnt lgkmcnt(0)
	s_barrier
	global_load_dwordx4 v[15:18], v12, s[8:9]
	global_load_dwordx4 v[19:22], v12, s[8:9] offset:16
	ds_read_u16 v13, v8 offset:3200
	ds_read_u16 v25, v8 offset:2240
	;; [unrolled: 1-line block ×12, first 2 shown]
	ds_read_u16 v52, v9
	ds_read_u16 v53, v8 offset:6080
	v_add_u32_e32 v1, 0xa0, v0
	s_mov_b32 s12, 0xcccd
	v_mul_u32_u24_e32 v6, 0xc8, v6
	s_waitcnt vmcnt(1) lgkmcnt(7)
	v_mul_f16_sdwa v24, v23, v15 dst_sel:DWORD dst_unused:UNUSED_PAD src0_sel:DWORD src1_sel:WORD_1
	v_fma_f16 v54, v45, v15, v24
	v_mul_f16_sdwa v24, v45, v15 dst_sel:DWORD dst_unused:UNUSED_PAD src0_sel:DWORD src1_sel:WORD_1
	v_fma_f16 v24, v23, v15, -v24
	v_mul_f16_sdwa v15, v10, v16 dst_sel:DWORD dst_unused:UNUSED_PAD src0_sel:DWORD src1_sel:WORD_1
	v_fma_f16 v55, v44, v16, v15
	v_mul_f16_sdwa v15, v44, v16 dst_sel:DWORD dst_unused:UNUSED_PAD src0_sel:DWORD src1_sel:WORD_1
	v_fma_f16 v56, v10, v16, -v15
	;; [unrolled: 4-line block ×3, first 2 shown]
	v_mul_u32_u24_sdwa v7, v1, s12 dst_sel:DWORD dst_unused:UNUSED_PAD src0_sel:WORD_0 src1_sel:DWORD
	v_lshrrev_b32_e32 v7, 19, v7
	v_mul_lo_u16_e32 v10, 10, v7
	v_sub_u16_e32 v10, v1, v10
	v_mul_u32_u24_e32 v16, 9, v10
	v_lshlrev_b32_e32 v16, 2, v16
	global_load_dword v58, v12, s[8:9] offset:32
	global_load_dwordx4 v[42:45], v16, s[8:9]
	s_waitcnt lgkmcnt(1)
	v_mul_f16_sdwa v15, v52, v18 dst_sel:DWORD dst_unused:UNUSED_PAD src0_sel:DWORD src1_sel:WORD_1
	v_mul_f16_sdwa v12, v48, v18 dst_sel:DWORD dst_unused:UNUSED_PAD src0_sel:DWORD src1_sel:WORD_1
	v_fma_f16 v59, v48, v18, v15
	v_fma_f16 v52, v52, v18, -v12
	ds_read_u16 v12, v8 offset:3840
	ds_read_u16 v15, v8 offset:3520
	;; [unrolled: 1-line block ×3, first 2 shown]
	s_waitcnt vmcnt(2)
	v_mul_f16_sdwa v17, v13, v19 dst_sel:DWORD dst_unused:UNUSED_PAD src0_sel:DWORD src1_sel:WORD_1
	v_fma_f16 v60, v47, v19, v17
	v_mul_f16_sdwa v17, v47, v19 dst_sel:DWORD dst_unused:UNUSED_PAD src0_sel:DWORD src1_sel:WORD_1
	v_fma_f16 v61, v13, v19, -v17
	s_waitcnt lgkmcnt(2)
	v_mul_f16_sdwa v13, v12, v20 dst_sel:DWORD dst_unused:UNUSED_PAD src0_sel:DWORD src1_sel:WORD_1
	v_fma_f16 v62, v46, v20, v13
	v_mul_f16_sdwa v13, v46, v20 dst_sel:DWORD dst_unused:UNUSED_PAD src0_sel:DWORD src1_sel:WORD_1
	v_fma_f16 v63, v12, v20, -v13
	v_mul_f16_sdwa v12, v49, v21 dst_sel:DWORD dst_unused:UNUSED_PAD src0_sel:DWORD src1_sel:WORD_1
	v_fma_f16 v64, v41, v21, v12
	v_mul_f16_sdwa v12, v41, v21 dst_sel:DWORD dst_unused:UNUSED_PAD src0_sel:DWORD src1_sel:WORD_1
	v_fma_f16 v41, v49, v21, -v12
	global_load_dwordx4 v[46:49], v16, s[8:9] offset:16
	global_load_dword v20, v16, s[8:9] offset:32
	v_mul_f16_sdwa v12, v36, v22 dst_sel:DWORD dst_unused:UNUSED_PAD src0_sel:DWORD src1_sel:WORD_1
	v_fma_f16 v65, v40, v22, v12
	v_mul_f16_sdwa v12, v40, v22 dst_sel:DWORD dst_unused:UNUSED_PAD src0_sel:DWORD src1_sel:WORD_1
	v_fma_f16 v40, v36, v22, -v12
	s_waitcnt vmcnt(2)
	v_mul_f16_sdwa v12, v27, v42 dst_sel:DWORD dst_unused:UNUSED_PAD src0_sel:DWORD src1_sel:WORD_1
	v_fma_f16 v21, v38, v42, v12
	v_mul_f16_sdwa v12, v38, v42 dst_sel:DWORD dst_unused:UNUSED_PAD src0_sel:DWORD src1_sel:WORD_1
	v_fma_f16 v13, v27, v42, -v12
	v_mul_f16_sdwa v12, v26, v43 dst_sel:DWORD dst_unused:UNUSED_PAD src0_sel:DWORD src1_sel:WORD_1
	s_waitcnt lgkmcnt(0)
	v_mul_f16_sdwa v16, v18, v45 dst_sel:DWORD dst_unused:UNUSED_PAD src0_sel:DWORD src1_sel:WORD_1
	v_fma_f16 v36, v35, v43, v12
	v_mul_f16_sdwa v12, v35, v43 dst_sel:DWORD dst_unused:UNUSED_PAD src0_sel:DWORD src1_sel:WORD_1
	v_fma_f16 v35, v39, v45, v16
	ds_read_u16 v16, v8 offset:5760
	v_fma_f16 v26, v26, v43, -v12
	v_mul_f16_sdwa v12, v25, v44 dst_sel:DWORD dst_unused:UNUSED_PAD src0_sel:DWORD src1_sel:WORD_1
	v_mul_f16_sdwa v19, v39, v45 dst_sel:DWORD dst_unused:UNUSED_PAD src0_sel:DWORD src1_sel:WORD_1
	v_fma_f16 v17, v33, v44, v12
	v_mul_f16_sdwa v12, v33, v44 dst_sel:DWORD dst_unused:UNUSED_PAD src0_sel:DWORD src1_sel:WORD_1
	v_fma_f16 v33, v18, v45, -v19
	s_waitcnt lgkmcnt(0)
	v_mul_f16_sdwa v18, v16, v58 dst_sel:DWORD dst_unused:UNUSED_PAD src0_sel:DWORD src1_sel:WORD_1
	v_fma_f16 v27, v37, v58, v18
	v_mul_f16_sdwa v18, v37, v58 dst_sel:DWORD dst_unused:UNUSED_PAD src0_sel:DWORD src1_sel:WORD_1
	v_fma_f16 v12, v25, v44, -v12
	ds_read_u16 v25, v8
	ds_read_u16 v22, v8 offset:5440
	v_fma_f16 v37, v16, v58, -v18
	s_waitcnt vmcnt(1)
	v_mul_f16_sdwa v16, v15, v46 dst_sel:DWORD dst_unused:UNUSED_PAD src0_sel:DWORD src1_sel:WORD_1
	v_fma_f16 v18, v34, v46, v16
	v_mul_f16_sdwa v16, v34, v46 dst_sel:DWORD dst_unused:UNUSED_PAD src0_sel:DWORD src1_sel:WORD_1
	v_fma_f16 v15, v15, v46, -v16
	v_mul_f16_sdwa v16, v51, v47 dst_sel:DWORD dst_unused:UNUSED_PAD src0_sel:DWORD src1_sel:WORD_1
	v_fma_f16 v44, v31, v47, v16
	v_mul_f16_sdwa v16, v31, v47 dst_sel:DWORD dst_unused:UNUSED_PAD src0_sel:DWORD src1_sel:WORD_1
	v_fma_f16 v31, v51, v47, -v16
	v_mul_f16_sdwa v16, v50, v48 dst_sel:DWORD dst_unused:UNUSED_PAD src0_sel:DWORD src1_sel:WORD_1
	v_fma_f16 v19, v30, v48, v16
	v_mul_f16_sdwa v16, v30, v48 dst_sel:DWORD dst_unused:UNUSED_PAD src0_sel:DWORD src1_sel:WORD_1
	s_waitcnt lgkmcnt(0)
	v_mul_f16_sdwa v30, v22, v49 dst_sel:DWORD dst_unused:UNUSED_PAD src0_sel:DWORD src1_sel:WORD_1
	v_fma_f16 v45, v32, v49, v30
	v_mul_f16_sdwa v30, v32, v49 dst_sel:DWORD dst_unused:UNUSED_PAD src0_sel:DWORD src1_sel:WORD_1
	v_fma_f16 v43, v22, v49, -v30
	s_waitcnt vmcnt(0)
	v_mul_f16_sdwa v22, v53, v20 dst_sel:DWORD dst_unused:UNUSED_PAD src0_sel:DWORD src1_sel:WORD_1
	v_fma_f16 v22, v29, v20, v22
	v_mul_f16_sdwa v29, v29, v20 dst_sel:DWORD dst_unused:UNUSED_PAD src0_sel:DWORD src1_sel:WORD_1
	v_fma_f16 v20, v53, v20, -v29
	v_add_f16_e32 v29, v28, v55
	v_add_f16_e32 v29, v29, v59
	;; [unrolled: 1-line block ×5, first 2 shown]
	v_fma_f16 v29, v29, -0.5, v28
	v_sub_f16_e32 v32, v56, v40
	v_fma_f16 v34, v32, s1, v29
	v_sub_f16_e32 v38, v52, v63
	v_sub_f16_e32 v39, v55, v59
	;; [unrolled: 1-line block ×3, first 2 shown]
	v_fma_f16 v29, v32, s5, v29
	v_fma_f16 v34, v38, s0, v34
	v_add_f16_e32 v39, v39, v42
	v_fma_f16 v29, v38, s4, v29
	v_fma_f16 v46, v39, s6, v34
	;; [unrolled: 1-line block ×3, first 2 shown]
	v_add_f16_e32 v29, v55, v65
	v_fma_f16 v28, v29, -0.5, v28
	v_fma_f16 v29, v38, s5, v28
	v_sub_f16_e32 v34, v59, v55
	v_sub_f16_e32 v42, v62, v65
	v_fma_f16 v28, v38, s1, v28
	v_add_f16_e32 v34, v34, v42
	v_fma_f16 v28, v32, s4, v28
	v_fma_f16 v29, v32, s0, v29
	;; [unrolled: 1-line block ×3, first 2 shown]
	v_add_f16_e32 v28, v25, v56
	v_add_f16_e32 v28, v28, v52
	;; [unrolled: 1-line block ×3, first 2 shown]
	v_fma_f16 v16, v50, v48, -v16
	v_add_f16_e32 v48, v28, v40
	v_add_f16_e32 v28, v52, v63
	v_fma_f16 v47, v34, s6, v29
	v_fma_f16 v28, v28, -0.5, v25
	v_sub_f16_e32 v29, v55, v65
	v_fma_f16 v34, v29, s5, v28
	v_sub_f16_e32 v38, v59, v62
	v_sub_f16_e32 v42, v56, v52
	;; [unrolled: 1-line block ×3, first 2 shown]
	v_fma_f16 v28, v29, s1, v28
	v_add_f16_e32 v42, v42, v49
	v_fma_f16 v28, v38, s0, v28
	v_fma_f16 v50, v42, s6, v28
	v_add_f16_e32 v28, v56, v40
	v_fma_f16 v34, v38, s4, v34
	v_fma_f16 v25, v28, -0.5, v25
	v_fma_f16 v49, v42, s6, v34
	v_fma_f16 v28, v38, s1, v25
	v_sub_f16_e32 v34, v52, v56
	v_sub_f16_e32 v40, v63, v40
	v_fma_f16 v25, v38, s5, v25
	v_add_f16_e32 v34, v34, v40
	v_fma_f16 v25, v29, s0, v25
	v_fma_f16 v52, v34, s6, v25
	v_add_f16_e32 v25, v54, v57
	v_add_f16_e32 v25, v25, v60
	v_fma_f16 v28, v29, s4, v28
	v_add_f16_e32 v25, v25, v64
	v_fma_f16 v51, v34, s6, v28
	v_add_f16_e32 v28, v25, v27
	v_add_f16_e32 v25, v60, v64
	v_fma_f16 v25, v25, -0.5, v54
	v_sub_f16_e32 v29, v23, v37
	v_fma_f16 v34, v29, s1, v25
	v_sub_f16_e32 v38, v61, v41
	v_sub_f16_e32 v40, v57, v60
	;; [unrolled: 1-line block ×3, first 2 shown]
	v_fma_f16 v25, v29, s5, v25
	v_add_f16_e32 v40, v40, v42
	v_fma_f16 v25, v38, s4, v25
	v_fma_f16 v55, v40, s6, v25
	v_add_f16_e32 v25, v57, v27
	v_fma_f16 v34, v38, s0, v34
	v_fma_f16 v25, v25, -0.5, v54
	v_fma_f16 v53, v40, s6, v34
	v_fma_f16 v34, v38, s5, v25
	;; [unrolled: 1-line block ×5, first 2 shown]
	v_add_f16_e32 v29, v24, v23
	v_add_f16_e32 v29, v29, v61
	v_add_f16_e32 v29, v29, v41
	v_sub_f16_e32 v40, v60, v57
	v_sub_f16_e32 v42, v64, v27
	v_add_f16_e32 v56, v29, v37
	v_add_f16_e32 v29, v61, v41
	;; [unrolled: 1-line block ×3, first 2 shown]
	v_fma_f16 v29, v29, -0.5, v24
	v_sub_f16_e32 v27, v57, v27
	v_fma_f16 v54, v40, s6, v34
	v_fma_f16 v25, v40, s6, v25
	;; [unrolled: 1-line block ×3, first 2 shown]
	v_sub_f16_e32 v38, v60, v64
	v_sub_f16_e32 v40, v23, v61
	;; [unrolled: 1-line block ×3, first 2 shown]
	v_fma_f16 v29, v27, s1, v29
	v_add_f16_e32 v40, v40, v42
	v_fma_f16 v29, v38, s0, v29
	v_fma_f16 v58, v40, s6, v29
	v_add_f16_e32 v29, v23, v37
	v_fma_f16 v34, v38, s4, v34
	v_fma_f16 v24, v29, -0.5, v24
	v_fma_f16 v57, v40, s6, v34
	v_fma_f16 v29, v38, s1, v24
	v_sub_f16_e32 v23, v61, v23
	v_sub_f16_e32 v34, v41, v37
	v_fma_f16 v24, v38, s5, v24
	v_fma_f16 v29, v27, s4, v29
	v_add_f16_e32 v23, v23, v34
	v_fma_f16 v24, v27, s0, v24
	v_fma_f16 v37, v23, s6, v29
	;; [unrolled: 1-line block ×3, first 2 shown]
	v_mul_f16_e32 v23, 0xb8b4, v57
	v_fma_f16 v41, v53, s7, v23
	v_mul_f16_e32 v23, 0xbb9c, v37
	v_fma_f16 v59, v54, s6, v23
	;; [unrolled: 2-line block ×4, first 2 shown]
	v_mul_f16_e32 v23, 0x3a79, v57
	v_mul_f16_e32 v24, 0x34f2, v37
	;; [unrolled: 1-line block ×3, first 2 shown]
	v_fma_f16 v53, v53, s4, v23
	v_fma_f16 v37, v54, s5, v24
	;; [unrolled: 1-line block ×3, first 2 shown]
	v_mul_f16_e32 v27, 0xba79, v58
	v_add_f16_e32 v40, v32, v60
	v_add_f16_e32 v24, v49, v53
	v_fma_f16 v55, v55, s4, v27
	v_sub_f16_e32 v58, v32, v60
	v_sub_f16_e32 v32, v49, v53
	v_add_f16_e32 v49, v35, v44
	v_add_f16_e32 v29, v30, v28
	v_add_f16_e32 v34, v46, v41
	v_sub_f16_e32 v57, v30, v28
	v_add_f16_e32 v28, v50, v55
	v_sub_f16_e32 v46, v46, v41
	v_sub_f16_e32 v41, v50, v55
	v_fma_f16 v49, v49, -0.5, v11
	v_sub_f16_e32 v50, v26, v43
	v_add_f16_e32 v38, v47, v59
	v_add_f16_e32 v42, v39, v61
	;; [unrolled: 1-line block ×4, first 2 shown]
	v_sub_f16_e32 v47, v47, v59
	v_sub_f16_e32 v59, v39, v61
	;; [unrolled: 1-line block ×4, first 2 shown]
	v_fma_f16 v51, v50, s1, v49
	v_sub_f16_e32 v52, v33, v31
	v_sub_f16_e32 v53, v36, v35
	;; [unrolled: 1-line block ×3, first 2 shown]
	v_fma_f16 v49, v50, s5, v49
	v_fma_f16 v51, v52, s0, v51
	v_add_f16_e32 v53, v53, v54
	v_fma_f16 v49, v52, s4, v49
	v_fma_f16 v51, v53, s6, v51
	;; [unrolled: 1-line block ×3, first 2 shown]
	v_add_f16_e32 v53, v36, v45
	v_add_f16_e32 v23, v48, v56
	v_sub_f16_e32 v30, v48, v56
	v_add_f16_e32 v48, v11, v36
	v_fma_f16 v11, v53, -0.5, v11
	v_add_f16_e32 v48, v48, v35
	v_fma_f16 v53, v52, s5, v11
	v_fma_f16 v11, v52, s1, v11
	v_add_f16_e32 v52, v33, v31
	v_add_f16_e32 v48, v48, v44
	v_sub_f16_e32 v54, v35, v36
	v_sub_f16_e32 v55, v44, v45
	v_fma_f16 v52, v52, -0.5, v14
	v_sub_f16_e32 v36, v36, v45
	v_add_f16_e32 v48, v48, v45
	v_fma_f16 v53, v50, s0, v53
	v_add_f16_e32 v54, v54, v55
	v_fma_f16 v11, v50, s4, v11
	v_fma_f16 v45, v36, s5, v52
	v_sub_f16_e32 v35, v35, v44
	v_fma_f16 v53, v54, s6, v53
	v_fma_f16 v11, v54, s6, v11
	;; [unrolled: 1-line block ×3, first 2 shown]
	v_sub_f16_e32 v45, v26, v33
	v_sub_f16_e32 v54, v43, v31
	v_fma_f16 v52, v36, s1, v52
	v_add_f16_e32 v45, v45, v54
	v_fma_f16 v52, v35, s0, v52
	v_add_f16_e32 v50, v14, v26
	v_fma_f16 v44, v45, s6, v44
	v_fma_f16 v45, v45, s6, v52
	v_add_f16_e32 v52, v26, v43
	v_add_f16_e32 v50, v50, v33
	v_fma_f16 v14, v52, -0.5, v14
	v_add_f16_e32 v50, v50, v31
	v_fma_f16 v52, v35, s1, v14
	v_sub_f16_e32 v26, v33, v26
	v_sub_f16_e32 v31, v31, v43
	v_add_f16_e32 v33, v18, v19
	v_fma_f16 v52, v36, s4, v52
	v_add_f16_e32 v26, v26, v31
	v_fma_f16 v14, v35, s5, v14
	v_fma_f16 v33, v33, -0.5, v21
	v_sub_f16_e32 v35, v12, v20
	v_add_f16_e32 v50, v50, v43
	v_fma_f16 v31, v26, s6, v52
	v_fma_f16 v14, v36, s0, v14
	;; [unrolled: 1-line block ×3, first 2 shown]
	v_sub_f16_e32 v43, v15, v16
	v_sub_f16_e32 v52, v17, v18
	;; [unrolled: 1-line block ×3, first 2 shown]
	v_fma_f16 v33, v35, s5, v33
	v_fma_f16 v36, v43, s0, v36
	v_add_f16_e32 v52, v52, v54
	v_fma_f16 v33, v43, s4, v33
	v_fma_f16 v36, v52, s6, v36
	;; [unrolled: 1-line block ×3, first 2 shown]
	v_add_f16_e32 v52, v17, v22
	v_fma_f16 v14, v26, s6, v14
	v_add_f16_e32 v26, v21, v17
	v_fma_f16 v21, v52, -0.5, v21
	v_add_f16_e32 v26, v26, v18
	v_fma_f16 v52, v43, s5, v21
	v_fma_f16 v21, v43, s1, v21
	v_add_f16_e32 v43, v15, v16
	v_add_f16_e32 v26, v26, v19
	v_sub_f16_e32 v54, v18, v17
	v_sub_f16_e32 v55, v19, v22
	v_fma_f16 v43, v43, -0.5, v13
	v_sub_f16_e32 v17, v17, v22
	v_add_f16_e32 v26, v26, v22
	v_fma_f16 v52, v35, s0, v52
	v_add_f16_e32 v54, v54, v55
	v_fma_f16 v21, v35, s4, v21
	v_fma_f16 v22, v17, s5, v43
	v_sub_f16_e32 v18, v18, v19
	v_fma_f16 v52, v54, s6, v52
	v_fma_f16 v21, v54, s6, v21
	;; [unrolled: 1-line block ×3, first 2 shown]
	v_sub_f16_e32 v22, v12, v15
	v_sub_f16_e32 v54, v20, v16
	v_fma_f16 v43, v17, s1, v43
	v_add_f16_e32 v22, v22, v54
	v_fma_f16 v43, v18, s0, v43
	v_fma_f16 v19, v22, s6, v19
	;; [unrolled: 1-line block ×3, first 2 shown]
	v_add_f16_e32 v43, v12, v20
	v_add_f16_e32 v35, v13, v12
	v_fma_f16 v13, v43, -0.5, v13
	v_add_f16_e32 v35, v35, v15
	v_fma_f16 v43, v18, s1, v13
	v_sub_f16_e32 v12, v15, v12
	v_sub_f16_e32 v15, v16, v20
	v_fma_f16 v13, v18, s5, v13
	v_fma_f16 v43, v17, s4, v43
	v_add_f16_e32 v12, v12, v15
	v_fma_f16 v13, v17, s0, v13
	v_fma_f16 v15, v12, s6, v43
	;; [unrolled: 1-line block ×3, first 2 shown]
	v_add_f16_e32 v35, v35, v16
	v_mul_f16_e32 v16, 0xb8b4, v19
	v_mul_f16_e32 v43, 0xbb9c, v12
	;; [unrolled: 1-line block ×6, first 2 shown]
	v_fma_f16 v19, v36, s4, v19
	v_mul_f16_e32 v15, 0x34f2, v15
	v_fma_f16 v12, v21, s5, v12
	v_mul_f16_e32 v22, 0xba79, v22
	v_fma_f16 v18, v52, s6, v18
	v_fma_f16 v55, v33, s11, v55
	;; [unrolled: 1-line block ×3, first 2 shown]
	v_add_f16_e32 v52, v44, v19
	v_fma_f16 v22, v33, s4, v22
	v_add_f16_e32 v33, v14, v12
	v_sub_f16_e32 v19, v44, v19
	v_sub_f16_e32 v44, v14, v12
	v_mov_b32_e32 v12, 1
	v_lshlrev_b32_sdwa v5, v12, v5 dst_sel:DWORD dst_unused:UNUSED_PAD src0_sel:DWORD src1_sel:BYTE_0
	v_fma_f16 v43, v21, s10, v43
	v_add3_u32 v5, 0, v6, v5
	v_mul_u32_u24_e32 v6, 0xc8, v7
	v_lshlrev_b32_e32 v7, 1, v10
	v_add_f16_e32 v35, v35, v20
	v_add_f16_e32 v13, v48, v26
	v_fma_f16 v16, v36, s7, v16
	v_add_f16_e32 v20, v53, v18
	v_add_f16_e32 v54, v11, v43
	v_sub_f16_e32 v26, v48, v26
	v_sub_f16_e32 v18, v53, v18
	;; [unrolled: 1-line block ×4, first 2 shown]
	v_add3_u32 v6, 0, v6, v7
	s_movk_i32 s0, 0x64
	v_add_f16_e32 v17, v51, v16
	v_add_f16_e32 v56, v49, v55
	;; [unrolled: 1-line block ×5, first 2 shown]
	v_sub_f16_e32 v16, v51, v16
	v_sub_f16_e32 v35, v50, v35
	;; [unrolled: 1-line block ×4, first 2 shown]
	s_barrier
	ds_write_b16 v5, v29
	ds_write_b16 v5, v34 offset:20
	ds_write_b16 v5, v38 offset:40
	ds_write_b16 v5, v40 offset:60
	ds_write_b16 v5, v42 offset:80
	ds_write_b16 v5, v57 offset:100
	ds_write_b16 v5, v46 offset:120
	ds_write_b16 v5, v47 offset:140
	ds_write_b16 v5, v58 offset:160
	ds_write_b16 v5, v59 offset:180
	ds_write_b16 v6, v13
	ds_write_b16 v6, v17 offset:20
	ds_write_b16 v6, v20 offset:40
	ds_write_b16 v6, v54 offset:60
	ds_write_b16 v6, v56 offset:80
	ds_write_b16 v6, v26 offset:100
	ds_write_b16 v6, v16 offset:120
	ds_write_b16 v6, v18 offset:140
	ds_write_b16 v6, v11 offset:160
	ds_write_b16 v6, v43 offset:180
	s_waitcnt lgkmcnt(0)
	s_barrier
	v_lshl_add_u32 v10, v0, 1, 0
	ds_read_u16 v14, v8
	ds_read_u16 v13, v8 offset:320
	ds_read_u16 v12, v8 offset:640
	;; [unrolled: 1-line block ×19, first 2 shown]
	s_waitcnt lgkmcnt(0)
	s_barrier
	ds_write_b16 v5, v23
	ds_write_b16 v5, v24 offset:20
	ds_write_b16 v5, v25 offset:40
	;; [unrolled: 1-line block ×9, first 2 shown]
	ds_write_b16 v6, v36
	ds_write_b16 v6, v52 offset:20
	ds_write_b16 v6, v21 offset:40
	;; [unrolled: 1-line block ×9, first 2 shown]
	v_add_u32_e32 v5, 0xffffff9c, v0
	v_cmp_gt_u32_e64 s[0:1], s0, v0
	v_cndmask_b32_e64 v30, v5, v0, s[0:1]
	v_mul_i32_i24_e32 v6, 3, v30
	v_mov_b32_e32 v7, 0
	v_lshlrev_b64 v[16:17], 2, v[6:7]
	v_mov_b32_e32 v5, s9
	v_add_co_u32_e64 v16, s[0:1], s8, v16
	v_addc_co_u32_e64 v17, s[0:1], v5, v17, s[0:1]
	v_lshrrev_b16_e32 v6, 2, v1
	s_waitcnt lgkmcnt(0)
	s_barrier
	global_load_dwordx3 v[20:22], v[16:17], off offset:360
	v_mul_u32_u24_e32 v6, 0x147b, v6
	v_lshrrev_b32_e32 v6, 17, v6
	v_mul_lo_u16_e32 v16, 0x64, v6
	v_sub_u16_e32 v16, v1, v16
	v_mul_u32_u24_e32 v1, 3, v16
	v_lshlrev_b32_e32 v1, 2, v1
	global_load_dwordx3 v[23:25], v1, s[8:9] offset:360
	ds_read_u16 v31, v8 offset:5120
	ds_read_u16 v32, v8 offset:5440
	ds_read_u16 v17, v10 offset:1600
	ds_read_u16 v33, v10 offset:960
	ds_read_u16 v27, v8 offset:3200
	ds_read_u16 v35, v8 offset:3520
	ds_read_u16 v36, v8 offset:3840
	ds_read_u16 v37, v8 offset:4160
	ds_read_u16 v39, v8 offset:2240
	ds_read_u16 v41, v8 offset:2560
	ds_read_u16 v44, v8 offset:2880
	ds_read_u16 v28, v8 offset:1920
	ds_read_u16 v19, v8 offset:1280
	ds_read_u16 v48, v8 offset:4800
	ds_read_u16 v52, v8 offset:4480
	v_add_u32_e32 v1, 0x140, v0
	s_movk_i32 s0, 0x63
	v_cmp_lt_u32_e64 s[0:1], s0, v0
	v_lshlrev_b32_e32 v30, 1, v30
	v_mul_u32_u24_e32 v6, 0x320, v6
	s_waitcnt vmcnt(1) lgkmcnt(12)
	v_mul_f16_sdwa v54, v17, v20 dst_sel:DWORD dst_unused:UNUSED_PAD src0_sel:DWORD src1_sel:WORD_1
	v_fma_f16 v54, v51, v20, v54
	v_mul_f16_sdwa v51, v51, v20 dst_sel:DWORD dst_unused:UNUSED_PAD src0_sel:DWORD src1_sel:WORD_1
	v_fma_f16 v51, v17, v20, -v51
	s_waitcnt lgkmcnt(10)
	v_mul_f16_sdwa v17, v27, v21 dst_sel:DWORD dst_unused:UNUSED_PAD src0_sel:DWORD src1_sel:WORD_1
	v_fma_f16 v55, v18, v21, v17
	v_mul_f16_sdwa v17, v18, v21 dst_sel:DWORD dst_unused:UNUSED_PAD src0_sel:DWORD src1_sel:WORD_1
	v_fma_f16 v56, v27, v21, -v17
	s_waitcnt lgkmcnt(1)
	v_mul_f16_sdwa v17, v48, v22 dst_sel:DWORD dst_unused:UNUSED_PAD src0_sel:DWORD src1_sel:WORD_1
	v_fma_f16 v57, v49, v22, v17
	v_mul_f16_sdwa v17, v49, v22 dst_sel:DWORD dst_unused:UNUSED_PAD src0_sel:DWORD src1_sel:WORD_1
	v_fma_f16 v48, v48, v22, -v17
	s_waitcnt vmcnt(0)
	v_mul_f16_sdwa v17, v28, v23 dst_sel:DWORD dst_unused:UNUSED_PAD src0_sel:DWORD src1_sel:WORD_1
	v_fma_f16 v49, v47, v23, v17
	v_mul_f16_sdwa v17, v47, v23 dst_sel:DWORD dst_unused:UNUSED_PAD src0_sel:DWORD src1_sel:WORD_1
	v_fma_f16 v47, v28, v23, -v17
	v_mul_f16_sdwa v17, v35, v24 dst_sel:DWORD dst_unused:UNUSED_PAD src0_sel:DWORD src1_sel:WORD_1
	v_fma_f16 v58, v26, v24, v17
	v_lshrrev_b16_e32 v17, 2, v1
	v_mul_u32_u24_e32 v17, 0x147b, v17
	v_lshrrev_b32_e32 v17, 17, v17
	v_mul_lo_u16_e32 v18, 0x64, v17
	v_sub_u16_e32 v18, v1, v18
	v_mul_f16_sdwa v20, v26, v24 dst_sel:DWORD dst_unused:UNUSED_PAD src0_sel:DWORD src1_sel:WORD_1
	v_mul_u32_u24_e32 v21, 3, v18
	v_lshlrev_b32_e32 v21, 2, v21
	v_fma_f16 v35, v35, v24, -v20
	v_mul_f16_sdwa v20, v31, v25 dst_sel:DWORD dst_unused:UNUSED_PAD src0_sel:DWORD src1_sel:WORD_1
	global_load_dwordx3 v[26:28], v21, s[8:9] offset:360
	v_fma_f16 v59, v29, v25, v20
	v_mul_f16_sdwa v20, v29, v25 dst_sel:DWORD dst_unused:UNUSED_PAD src0_sel:DWORD src1_sel:WORD_1
	v_add_u16_e32 v21, 0x1e0, v0
	v_fma_f16 v25, v31, v25, -v20
	v_lshrrev_b16_e32 v20, 2, v21
	v_mul_u32_u24_e32 v20, 0x147b, v20
	v_lshrrev_b32_e32 v20, 17, v20
	v_mul_lo_u16_e32 v22, 0x64, v20
	v_sub_u16_e32 v21, v21, v22
	v_mul_u32_u24_e32 v22, 3, v21
	v_lshlrev_b32_e32 v22, 2, v22
	global_load_dwordx3 v[22:24], v22, s[8:9] offset:360
	v_sub_f16_e32 v48, v51, v48
	v_fma_f16 v51, v51, 2.0, -v48
	v_sub_f16_e32 v25, v47, v25
	v_fma_f16 v47, v47, 2.0, -v25
	s_waitcnt vmcnt(1)
	v_mul_f16_sdwa v29, v39, v26 dst_sel:DWORD dst_unused:UNUSED_PAD src0_sel:DWORD src1_sel:WORD_1
	v_mul_f16_sdwa v31, v43, v26 dst_sel:DWORD dst_unused:UNUSED_PAD src0_sel:DWORD src1_sel:WORD_1
	v_fma_f16 v29, v43, v26, v29
	v_fma_f16 v26, v39, v26, -v31
	v_mul_f16_sdwa v31, v36, v27 dst_sel:DWORD dst_unused:UNUSED_PAD src0_sel:DWORD src1_sel:WORD_1
	v_fma_f16 v31, v38, v27, v31
	v_mul_f16_sdwa v38, v38, v27 dst_sel:DWORD dst_unused:UNUSED_PAD src0_sel:DWORD src1_sel:WORD_1
	v_fma_f16 v27, v36, v27, -v38
	v_mul_f16_sdwa v36, v32, v28 dst_sel:DWORD dst_unused:UNUSED_PAD src0_sel:DWORD src1_sel:WORD_1
	v_fma_f16 v36, v34, v28, v36
	v_mul_f16_sdwa v34, v34, v28 dst_sel:DWORD dst_unused:UNUSED_PAD src0_sel:DWORD src1_sel:WORD_1
	v_fma_f16 v28, v32, v28, -v34
	ds_read_u16 v32, v8 offset:5760
	ds_read_u16 v34, v8 offset:6080
	s_waitcnt vmcnt(0)
	v_mul_f16_sdwa v38, v41, v22 dst_sel:DWORD dst_unused:UNUSED_PAD src0_sel:DWORD src1_sel:WORD_1
	v_mul_f16_sdwa v39, v45, v22 dst_sel:DWORD dst_unused:UNUSED_PAD src0_sel:DWORD src1_sel:WORD_1
	v_fma_f16 v38, v45, v22, v38
	v_fma_f16 v39, v41, v22, -v39
	v_mul_f16_sdwa v22, v37, v23 dst_sel:DWORD dst_unused:UNUSED_PAD src0_sel:DWORD src1_sel:WORD_1
	v_fma_f16 v41, v40, v23, v22
	v_mul_f16_sdwa v22, v40, v23 dst_sel:DWORD dst_unused:UNUSED_PAD src0_sel:DWORD src1_sel:WORD_1
	v_fma_f16 v37, v37, v23, -v22
	s_waitcnt lgkmcnt(1)
	v_mul_f16_sdwa v22, v32, v24 dst_sel:DWORD dst_unused:UNUSED_PAD src0_sel:DWORD src1_sel:WORD_1
	v_fma_f16 v40, v42, v24, v22
	v_mul_f16_sdwa v22, v42, v24 dst_sel:DWORD dst_unused:UNUSED_PAD src0_sel:DWORD src1_sel:WORD_1
	v_fma_f16 v32, v32, v24, -v22
	v_add_u16_e32 v22, 0x280, v0
	v_lshrrev_b16_e32 v23, 2, v22
	v_mul_u32_u24_e32 v23, 0x147b, v23
	v_lshrrev_b32_e32 v42, 17, v23
	v_mul_lo_u16_e32 v23, 0x64, v42
	v_sub_u16_e32 v43, v22, v23
	v_mul_u32_u24_e32 v22, 3, v43
	v_lshlrev_b32_e32 v22, 2, v22
	global_load_dwordx3 v[22:24], v22, s[8:9] offset:360
	v_sub_f16_e32 v31, v12, v31
	v_sub_f16_e32 v36, v29, v36
	v_fma_f16 v12, v12, 2.0, -v31
	v_fma_f16 v29, v29, 2.0, -v36
	v_sub_f16_e32 v28, v26, v28
	v_sub_f16_e32 v29, v12, v29
	;; [unrolled: 1-line block ×4, first 2 shown]
	v_fma_f16 v26, v26, 2.0, -v28
	v_fma_f16 v12, v12, 2.0, -v29
	v_add_f16_e32 v28, v31, v28
	v_fma_f16 v15, v15, 2.0, -v41
	v_fma_f16 v38, v38, 2.0, -v40
	;; [unrolled: 1-line block ×3, first 2 shown]
	v_sub_f16_e32 v32, v39, v32
	v_sub_f16_e32 v38, v15, v38
	;; [unrolled: 1-line block ×3, first 2 shown]
	v_fma_f16 v39, v39, 2.0, -v32
	v_fma_f16 v15, v15, 2.0, -v38
	v_add_f16_e32 v32, v41, v32
	v_fma_f16 v33, v33, 2.0, -v37
	v_fma_f16 v41, v41, 2.0, -v32
	v_sub_f16_e32 v39, v33, v39
	v_sub_f16_e32 v40, v37, v40
	v_fma_f16 v33, v33, 2.0, -v39
	v_fma_f16 v37, v37, 2.0, -v40
	s_waitcnt vmcnt(0)
	v_mul_f16_sdwa v45, v44, v22 dst_sel:DWORD dst_unused:UNUSED_PAD src0_sel:DWORD src1_sel:WORD_1
	v_fma_f16 v45, v46, v22, v45
	v_mul_f16_sdwa v46, v46, v22 dst_sel:DWORD dst_unused:UNUSED_PAD src0_sel:DWORD src1_sel:WORD_1
	v_fma_f16 v22, v44, v22, -v46
	v_mul_f16_sdwa v44, v52, v23 dst_sel:DWORD dst_unused:UNUSED_PAD src0_sel:DWORD src1_sel:WORD_1
	v_mul_f16_sdwa v46, v50, v23 dst_sel:DWORD dst_unused:UNUSED_PAD src0_sel:DWORD src1_sel:WORD_1
	v_fma_f16 v44, v50, v23, v44
	v_fma_f16 v23, v52, v23, -v46
	s_waitcnt lgkmcnt(0)
	v_mul_f16_sdwa v46, v34, v24 dst_sel:DWORD dst_unused:UNUSED_PAD src0_sel:DWORD src1_sel:WORD_1
	v_mul_f16_sdwa v50, v53, v24 dst_sel:DWORD dst_unused:UNUSED_PAD src0_sel:DWORD src1_sel:WORD_1
	v_fma_f16 v46, v53, v24, v46
	v_fma_f16 v24, v34, v24, -v50
	ds_read_u16 v50, v8
	v_sub_f16_e32 v53, v14, v55
	v_mov_b32_e32 v34, 0x320
	v_fma_f16 v14, v14, 2.0, -v53
	v_cndmask_b32_e64 v34, 0, v34, s[0:1]
	s_waitcnt lgkmcnt(0)
	v_sub_f16_e32 v55, v50, v56
	v_sub_f16_e32 v56, v54, v57
	v_fma_f16 v54, v54, 2.0, -v56
	v_sub_f16_e32 v54, v14, v54
	v_sub_f16_e32 v57, v13, v58
	;; [unrolled: 1-line block ×3, first 2 shown]
	v_add3_u32 v30, 0, v34, v30
	v_fma_f16 v14, v14, 2.0, -v54
	v_add_f16_e32 v48, v53, v48
	v_fma_f16 v13, v13, 2.0, -v57
	v_fma_f16 v49, v49, 2.0, -v58
	ds_read_u16 v34, v8 offset:320
	ds_read_u16 v52, v8 offset:640
	v_fma_f16 v53, v53, 2.0, -v48
	v_sub_f16_e32 v49, v13, v49
	s_waitcnt lgkmcnt(0)
	s_barrier
	ds_write_b16 v30, v14
	ds_write_b16 v30, v53 offset:200
	ds_write_b16 v30, v54 offset:400
	;; [unrolled: 1-line block ×3, first 2 shown]
	v_lshlrev_b32_e32 v14, 1, v16
	v_fma_f16 v13, v13, 2.0, -v49
	v_add_f16_e32 v25, v57, v25
	v_add3_u32 v6, 0, v6, v14
	v_fma_f16 v57, v57, 2.0, -v25
	ds_write_b16 v6, v13
	ds_write_b16 v6, v57 offset:200
	ds_write_b16 v6, v49 offset:400
	;; [unrolled: 1-line block ×3, first 2 shown]
	v_mul_u32_u24_e32 v13, 0x320, v17
	v_lshlrev_b32_e32 v14, 1, v18
	v_add3_u32 v13, 0, v13, v14
	v_sub_f16_e32 v44, v11, v44
	v_sub_f16_e32 v46, v45, v46
	ds_write_b16 v13, v12
	ds_write_b16 v13, v31 offset:200
	ds_write_b16 v13, v29 offset:400
	;; [unrolled: 1-line block ×3, first 2 shown]
	v_mul_u32_u24_e32 v12, 0x320, v20
	v_lshlrev_b32_e32 v14, 1, v21
	v_fma_f16 v50, v50, 2.0, -v55
	v_sub_f16_e32 v35, v34, v35
	v_sub_f16_e32 v27, v52, v27
	;; [unrolled: 1-line block ×3, first 2 shown]
	v_fma_f16 v11, v11, 2.0, -v44
	v_sub_f16_e32 v24, v22, v24
	v_fma_f16 v45, v45, 2.0, -v46
	v_add3_u32 v12, 0, v12, v14
	v_sub_f16_e32 v51, v50, v51
	v_fma_f16 v34, v34, 2.0, -v35
	v_fma_f16 v52, v52, 2.0, -v27
	;; [unrolled: 1-line block ×4, first 2 shown]
	v_sub_f16_e32 v45, v11, v45
	v_add_f16_e32 v24, v44, v24
	ds_write_b16 v12, v15
	ds_write_b16 v12, v41 offset:200
	ds_write_b16 v12, v38 offset:400
	;; [unrolled: 1-line block ×3, first 2 shown]
	v_mul_u32_u24_e32 v14, 0x320, v42
	v_lshlrev_b32_e32 v15, 1, v43
	v_fma_f16 v50, v50, 2.0, -v51
	v_sub_f16_e32 v56, v55, v56
	v_sub_f16_e32 v47, v34, v47
	;; [unrolled: 1-line block ×6, first 2 shown]
	v_fma_f16 v11, v11, 2.0, -v45
	v_sub_f16_e32 v46, v23, v46
	v_fma_f16 v44, v44, 2.0, -v24
	v_add3_u32 v14, 0, v14, v15
	v_fma_f16 v55, v55, 2.0, -v56
	v_fma_f16 v34, v34, 2.0, -v47
	;; [unrolled: 1-line block ×7, first 2 shown]
	ds_write_b16 v14, v11
	ds_write_b16 v14, v44 offset:200
	ds_write_b16 v14, v45 offset:400
	;; [unrolled: 1-line block ×3, first 2 shown]
	s_waitcnt lgkmcnt(0)
	s_barrier
	ds_read_u16 v28, v8
	ds_read_u16 v29, v8 offset:320
	ds_read_u16 v31, v8 offset:640
	;; [unrolled: 1-line block ×19, first 2 shown]
	s_waitcnt lgkmcnt(0)
	s_barrier
	ds_write_b16 v30, v50
	ds_write_b16 v30, v55 offset:200
	ds_write_b16 v30, v51 offset:400
	ds_write_b16 v30, v56 offset:600
	ds_write_b16 v6, v34
	ds_write_b16 v6, v35 offset:200
	ds_write_b16 v6, v47 offset:400
	ds_write_b16 v6, v58 offset:600
	;; [unrolled: 4-line block ×5, first 2 shown]
	v_mul_u32_u24_e32 v6, 3, v0
	v_lshlrev_b32_e32 v23, 2, v6
	s_waitcnt lgkmcnt(0)
	s_barrier
	global_load_dwordx3 v[11:13], v23, s[8:9] offset:1560
	global_load_dwordx3 v[14:16], v23, s[8:9] offset:3480
	s_movk_i32 s0, 0x50
	v_add_u32_e32 v6, 0xffffffb0, v0
	v_cmp_gt_u32_e64 s[0:1], s0, v0
	v_cndmask_b32_e64 v1, v6, v1, s[0:1]
	v_mul_i32_i24_e32 v6, 3, v1
	v_lshlrev_b64 v[17:18], 2, v[6:7]
	v_lshlrev_b32_e32 v1, 1, v1
	v_add_co_u32_e64 v17, s[0:1], s8, v17
	v_addc_co_u32_e64 v18, s[0:1], v5, v18, s[0:1]
	global_load_dwordx3 v[17:19], v[17:18], off offset:1560
	v_add_u32_e32 v5, 0x3c0, v23
	global_load_dwordx3 v[20:22], v5, s[8:9] offset:1560
	v_add_u32_e32 v5, 0xb40, v23
	global_load_dwordx3 v[23:25], v5, s[8:9] offset:1560
	ds_read_u16 v5, v8 offset:5120
	ds_read_u16 v6, v8 offset:5440
	;; [unrolled: 1-line block ×13, first 2 shown]
	s_movk_i32 s0, 0x4f
	v_cmp_lt_u32_e64 s[0:1], s0, v0
	s_waitcnt vmcnt(4) lgkmcnt(10)
	v_mul_f16_sdwa v47, v26, v11 dst_sel:DWORD dst_unused:UNUSED_PAD src0_sel:DWORD src1_sel:WORD_1
	v_mul_f16_sdwa v50, v61, v11 dst_sel:DWORD dst_unused:UNUSED_PAD src0_sel:DWORD src1_sel:WORD_1
	v_fma_f16 v47, v61, v11, v47
	v_fma_f16 v11, v26, v11, -v50
	s_waitcnt lgkmcnt(8)
	v_mul_f16_sdwa v26, v30, v12 dst_sel:DWORD dst_unused:UNUSED_PAD src0_sel:DWORD src1_sel:WORD_1
	v_fma_f16 v26, v41, v12, v26
	v_mul_f16_sdwa v41, v41, v12 dst_sel:DWORD dst_unused:UNUSED_PAD src0_sel:DWORD src1_sel:WORD_1
	v_fma_f16 v12, v30, v12, -v41
	ds_read_u16 v41, v8 offset:1920
	s_waitcnt lgkmcnt(2)
	v_mul_f16_sdwa v30, v40, v13 dst_sel:DWORD dst_unused:UNUSED_PAD src0_sel:DWORD src1_sel:WORD_1
	v_mul_f16_sdwa v50, v59, v13 dst_sel:DWORD dst_unused:UNUSED_PAD src0_sel:DWORD src1_sel:WORD_1
	v_fma_f16 v30, v59, v13, v30
	v_fma_f16 v13, v40, v13, -v50
	ds_read_u16 v40, v8 offset:1280
	s_waitcnt vmcnt(3) lgkmcnt(1)
	v_mul_f16_sdwa v50, v41, v14 dst_sel:DWORD dst_unused:UNUSED_PAD src0_sel:DWORD src1_sel:WORD_1
	v_mul_f16_sdwa v51, v54, v14 dst_sel:DWORD dst_unused:UNUSED_PAD src0_sel:DWORD src1_sel:WORD_1
	v_fma_f16 v50, v54, v14, v50
	v_fma_f16 v14, v41, v14, -v51
	v_mul_f16_sdwa v41, v33, v15 dst_sel:DWORD dst_unused:UNUSED_PAD src0_sel:DWORD src1_sel:WORD_1
	s_waitcnt vmcnt(2)
	v_mul_f16_sdwa v54, v36, v17 dst_sel:DWORD dst_unused:UNUSED_PAD src0_sel:DWORD src1_sel:WORD_1
	v_fma_f16 v41, v42, v15, v41
	v_mul_f16_sdwa v42, v42, v15 dst_sel:DWORD dst_unused:UNUSED_PAD src0_sel:DWORD src1_sel:WORD_1
	v_fma_f16 v54, v48, v17, v54
	v_mul_f16_sdwa v48, v48, v17 dst_sel:DWORD dst_unused:UNUSED_PAD src0_sel:DWORD src1_sel:WORD_1
	v_fma_f16 v15, v33, v15, -v42
	v_mul_f16_sdwa v33, v5, v16 dst_sel:DWORD dst_unused:UNUSED_PAD src0_sel:DWORD src1_sel:WORD_1
	v_fma_f16 v17, v36, v17, -v48
	v_mul_f16_sdwa v36, v34, v18 dst_sel:DWORD dst_unused:UNUSED_PAD src0_sel:DWORD src1_sel:WORD_1
	v_fma_f16 v33, v32, v16, v33
	v_mul_f16_sdwa v32, v32, v16 dst_sel:DWORD dst_unused:UNUSED_PAD src0_sel:DWORD src1_sel:WORD_1
	v_fma_f16 v36, v43, v18, v36
	v_mul_f16_sdwa v43, v43, v18 dst_sel:DWORD dst_unused:UNUSED_PAD src0_sel:DWORD src1_sel:WORD_1
	v_fma_f16 v5, v5, v16, -v32
	ds_read_u16 v16, v8
	ds_read_u16 v32, v8 offset:320
	ds_read_u16 v42, v8 offset:640
	;; [unrolled: 1-line block ×4, first 2 shown]
	v_fma_f16 v18, v34, v18, -v43
	v_mul_f16_sdwa v34, v6, v19 dst_sel:DWORD dst_unused:UNUSED_PAD src0_sel:DWORD src1_sel:WORD_1
	v_fma_f16 v34, v38, v19, v34
	v_mul_f16_sdwa v38, v38, v19 dst_sel:DWORD dst_unused:UNUSED_PAD src0_sel:DWORD src1_sel:WORD_1
	v_fma_f16 v6, v6, v19, -v38
	s_waitcnt vmcnt(1)
	v_mul_f16_sdwa v19, v37, v20 dst_sel:DWORD dst_unused:UNUSED_PAD src0_sel:DWORD src1_sel:WORD_1
	v_mul_f16_sdwa v38, v49, v20 dst_sel:DWORD dst_unused:UNUSED_PAD src0_sel:DWORD src1_sel:WORD_1
	v_fma_f16 v19, v49, v20, v19
	v_fma_f16 v20, v37, v20, -v38
	v_mul_f16_sdwa v37, v35, v21 dst_sel:DWORD dst_unused:UNUSED_PAD src0_sel:DWORD src1_sel:WORD_1
	v_mul_f16_sdwa v38, v44, v21 dst_sel:DWORD dst_unused:UNUSED_PAD src0_sel:DWORD src1_sel:WORD_1
	v_fma_f16 v37, v44, v21, v37
	v_fma_f16 v21, v35, v21, -v38
	s_waitcnt lgkmcnt(1)
	v_mul_f16_sdwa v35, v51, v22 dst_sel:DWORD dst_unused:UNUSED_PAD src0_sel:DWORD src1_sel:WORD_1
	v_mul_f16_sdwa v38, v45, v22 dst_sel:DWORD dst_unused:UNUSED_PAD src0_sel:DWORD src1_sel:WORD_1
	v_fma_f16 v35, v45, v22, v35
	v_fma_f16 v22, v51, v22, -v38
	s_waitcnt vmcnt(0)
	v_mul_f16_sdwa v38, v39, v23 dst_sel:DWORD dst_unused:UNUSED_PAD src0_sel:DWORD src1_sel:WORD_1
	v_mul_f16_sdwa v43, v53, v23 dst_sel:DWORD dst_unused:UNUSED_PAD src0_sel:DWORD src1_sel:WORD_1
	v_fma_f16 v38, v53, v23, v38
	v_fma_f16 v23, v39, v23, -v43
	v_mul_f16_sdwa v39, v46, v24 dst_sel:DWORD dst_unused:UNUSED_PAD src0_sel:DWORD src1_sel:WORD_1
	v_mul_f16_sdwa v43, v60, v24 dst_sel:DWORD dst_unused:UNUSED_PAD src0_sel:DWORD src1_sel:WORD_1
	v_fma_f16 v39, v60, v24, v39
	v_fma_f16 v24, v46, v24, -v43
	s_waitcnt lgkmcnt(0)
	v_mul_f16_sdwa v43, v52, v25 dst_sel:DWORD dst_unused:UNUSED_PAD src0_sel:DWORD src1_sel:WORD_1
	v_mul_f16_sdwa v44, v63, v25 dst_sel:DWORD dst_unused:UNUSED_PAD src0_sel:DWORD src1_sel:WORD_1
	v_sub_f16_e32 v26, v28, v26
	v_sub_f16_e32 v12, v16, v12
	v_sub_f16_e32 v30, v47, v30
	v_sub_f16_e32 v13, v11, v13
	v_fma_f16 v43, v63, v25, v43
	v_fma_f16 v25, v52, v25, -v44
	v_fma_f16 v28, v28, 2.0, -v26
	v_fma_f16 v16, v16, 2.0, -v12
	v_fma_f16 v44, v47, 2.0, -v30
	v_fma_f16 v11, v11, 2.0, -v13
	v_sub_f16_e32 v47, v12, v30
	v_sub_f16_e32 v44, v28, v44
	;; [unrolled: 1-line block ×3, first 2 shown]
	v_add_f16_e32 v13, v26, v13
	v_fma_f16 v48, v12, 2.0, -v47
	v_sub_f16_e32 v12, v29, v41
	v_sub_f16_e32 v15, v32, v15
	;; [unrolled: 1-line block ×3, first 2 shown]
	v_fma_f16 v11, v28, 2.0, -v44
	v_fma_f16 v46, v16, 2.0, -v45
	;; [unrolled: 1-line block ×5, first 2 shown]
	v_sub_f16_e32 v29, v50, v33
	v_fma_f16 v14, v14, 2.0, -v5
	v_fma_f16 v30, v50, 2.0, -v29
	v_sub_f16_e32 v32, v28, v14
	v_sub_f16_e32 v41, v15, v29
	;; [unrolled: 1-line block ×5, first 2 shown]
	v_fma_f16 v33, v28, 2.0, -v32
	v_fma_f16 v49, v15, 2.0, -v41
	v_sub_f16_e32 v15, v31, v36
	v_fma_f16 v28, v42, 2.0, -v18
	v_sub_f16_e32 v29, v54, v34
	v_fma_f16 v17, v17, 2.0, -v6
	v_fma_f16 v14, v26, 2.0, -v30
	;; [unrolled: 1-line block ×4, first 2 shown]
	v_sub_f16_e32 v34, v28, v17
	v_sub_f16_e32 v42, v18, v29
	v_sub_f16_e32 v31, v26, v31
	v_fma_f16 v36, v28, 2.0, -v34
	v_fma_f16 v50, v18, 2.0, -v42
	v_sub_f16_e32 v18, v62, v37
	v_sub_f16_e32 v21, v27, v21
	;; [unrolled: 1-line block ×3, first 2 shown]
	v_fma_f16 v17, v26, 2.0, -v31
	v_fma_f16 v26, v62, 2.0, -v18
	v_sub_f16_e32 v22, v20, v22
	v_fma_f16 v19, v19, 2.0, -v28
	v_sub_f16_e32 v51, v21, v28
	v_add_f16_e32 v5, v12, v5
	v_fma_f16 v27, v27, 2.0, -v21
	v_fma_f16 v20, v20, 2.0, -v22
	v_sub_f16_e32 v19, v26, v19
	v_fma_f16 v52, v21, 2.0, -v51
	v_sub_f16_e32 v21, v57, v39
	v_sub_f16_e32 v28, v38, v43
	v_fma_f16 v12, v12, 2.0, -v5
	v_sub_f16_e32 v35, v27, v20
	v_fma_f16 v20, v26, 2.0, -v19
	;; [unrolled: 2-line block ×4, first 2 shown]
	s_barrier
	ds_write_b16 v8, v11
	ds_write_b16 v8, v16 offset:800
	ds_write_b16 v8, v44 offset:1600
	;; [unrolled: 1-line block ×7, first 2 shown]
	v_mov_b32_e32 v5, 0xc80
	v_add_f16_e32 v6, v15, v6
	v_fma_f16 v37, v27, 2.0, -v35
	v_add_f16_e32 v22, v18, v22
	v_fma_f16 v27, v40, 2.0, -v24
	v_fma_f16 v23, v23, 2.0, -v25
	v_sub_f16_e32 v29, v26, v29
	v_add_f16_e32 v25, v21, v25
	v_cndmask_b32_e64 v5, 0, v5, s[0:1]
	v_fma_f16 v15, v15, 2.0, -v6
	v_fma_f16 v18, v18, 2.0, -v22
	v_sub_f16_e32 v38, v27, v23
	v_fma_f16 v23, v26, 2.0, -v29
	v_sub_f16_e32 v40, v24, v28
	v_fma_f16 v21, v21, 2.0, -v25
	v_add3_u32 v1, 0, v5, v1
	v_fma_f16 v39, v27, 2.0, -v38
	v_fma_f16 v43, v24, 2.0, -v40
	ds_write_b16 v1, v17
	ds_write_b16 v1, v15 offset:800
	ds_write_b16 v1, v31 offset:1600
	;; [unrolled: 1-line block ×11, first 2 shown]
	s_waitcnt lgkmcnt(0)
	s_barrier
	ds_read_u16 v12, v8 offset:3520
	ds_read_u16 v15, v8 offset:3840
	ds_read_u16 v11, v8
	ds_read_u16 v14, v8 offset:320
	ds_read_u16 v16, v8 offset:640
	;; [unrolled: 1-line block ×15, first 2 shown]
	ds_read_u16 v27, v9
	ds_read_u16 v30, v8 offset:6080
	s_waitcnt lgkmcnt(0)
	s_barrier
	ds_write_b16 v8, v46
	ds_write_b16 v8, v48 offset:800
	ds_write_b16 v8, v45 offset:1600
	ds_write_b16 v8, v47 offset:2400
	ds_write_b16 v8, v33 offset:320
	ds_write_b16 v8, v49 offset:1120
	ds_write_b16 v8, v32 offset:1920
	ds_write_b16 v8, v41 offset:2720
	ds_write_b16 v1, v36
	ds_write_b16 v1, v50 offset:800
	ds_write_b16 v1, v34 offset:1600
	;; [unrolled: 1-line block ×11, first 2 shown]
	s_waitcnt lgkmcnt(0)
	s_barrier
	s_and_saveexec_b64 s[0:1], vcc
	s_cbranch_execz .LBB0_15
; %bb.14:
	v_add_u32_e32 v6, 0x5a0, v0
	v_lshlrev_b64 v[32:33], 2, v[6:7]
	v_mov_b32_e32 v34, s9
	v_add_co_u32_e32 v1, vcc, s8, v32
	v_addc_co_u32_e32 v5, vcc, v34, v33, vcc
	v_add_co_u32_e32 v32, vcc, 0x1000, v1
	v_addc_co_u32_e32 v33, vcc, 0, v5, vcc
	v_mov_b32_e32 v5, v7
	v_lshlrev_b64 v[4:5], 2, v[4:5]
	s_movk_i32 s1, 0x1000
	v_add_co_u32_e32 v1, vcc, s8, v4
	v_addc_co_u32_e32 v5, vcc, v34, v5, vcc
	v_add_co_u32_e32 v4, vcc, s1, v1
	v_add_u32_e32 v31, 0x460, v0
	v_addc_co_u32_e32 v5, vcc, 0, v5, vcc
	global_load_dword v35, v[32:33], off offset:2264
	global_load_dword v36, v[4:5], off offset:2264
	v_mov_b32_e32 v32, v7
	v_lshlrev_b64 v[4:5], 2, v[31:32]
	s_movk_i32 s0, 0x2000
	v_add_co_u32_e32 v1, vcc, s8, v4
	v_addc_co_u32_e32 v5, vcc, v34, v5, vcc
	v_add_co_u32_e32 v4, vcc, s1, v1
	v_addc_co_u32_e32 v5, vcc, 0, v5, vcc
	v_mov_b32_e32 v1, v7
	global_load_dword v37, v[4:5], off offset:2264
	v_lshlrev_b64 v[4:5], 2, v[0:1]
	v_add_co_u32_e32 v1, vcc, s8, v4
	v_addc_co_u32_e32 v34, vcc, v34, v5, vcc
	v_add_co_u32_e32 v31, vcc, s0, v1
	v_addc_co_u32_e32 v32, vcc, 0, v34, vcc
	global_load_dword v38, v[31:32], off offset:2008
	v_add_co_u32_e32 v33, vcc, s1, v1
	v_addc_co_u32_e32 v34, vcc, 0, v34, vcc
	global_load_dword v1, v[33:34], off offset:2264
	global_load_dword v39, v[31:32], off offset:1368
	;; [unrolled: 1-line block ×5, first 2 shown]
	ds_read_u16 v9, v9
	ds_read_u16 v31, v8 offset:6080
	ds_read_u16 v32, v8 offset:5760
	global_load_dword v33, v[33:34], off offset:2904
	ds_read_u16 v34, v10 offset:2880
	ds_read_u16 v43, v10 offset:2240
	;; [unrolled: 1-line block ×5, first 2 shown]
	s_waitcnt vmcnt(9) lgkmcnt(6)
	v_mul_f16_sdwa v45, v35, v31 dst_sel:DWORD dst_unused:UNUSED_PAD src0_sel:WORD_1 src1_sel:DWORD
	s_waitcnt vmcnt(8)
	v_mul_f16_sdwa v49, v29, v36 dst_sel:DWORD dst_unused:UNUSED_PAD src0_sel:DWORD src1_sel:WORD_1
	s_waitcnt lgkmcnt(5)
	v_mul_f16_sdwa v48, v36, v32 dst_sel:DWORD dst_unused:UNUSED_PAD src0_sel:WORD_1 src1_sel:DWORD
	v_fma_f16 v32, v36, v32, -v49
	v_sub_f16_e32 v32, v9, v32
	v_mul_f16_sdwa v47, v30, v35 dst_sel:DWORD dst_unused:UNUSED_PAD src0_sel:DWORD src1_sel:WORD_1
	v_fma_f16 v29, v29, v36, v48
	v_fma_f16 v36, v9, 2.0, -v32
	ds_read_u16 v9, v8 offset:4800
	v_fma_f16 v30, v30, v35, v45
	ds_read_u16 v45, v8 offset:1920
	v_fma_f16 v31, v35, v31, -v47
	v_sub_f16_e32 v29, v27, v29
	v_fma_f16 v27, v27, 2.0, -v29
	s_waitcnt vmcnt(7)
	v_mul_f16_sdwa v52, v26, v37 dst_sel:DWORD dst_unused:UNUSED_PAD src0_sel:DWORD src1_sel:WORD_1
	s_waitcnt lgkmcnt(3)
	v_fma_f16 v35, v37, v46, -v52
	v_mul_f16_sdwa v51, v37, v46 dst_sel:DWORD dst_unused:UNUSED_PAD src0_sel:WORD_1 src1_sel:DWORD
	v_sub_f16_e32 v35, v43, v35
	v_fma_f16 v26, v26, v37, v51
	v_fma_f16 v37, v43, 2.0, -v35
	v_sub_f16_e32 v26, v25, v26
	v_fma_f16 v25, v25, 2.0, -v26
	v_sub_f16_e32 v30, v28, v30
	v_sub_f16_e32 v31, v34, v31
	v_fma_f16 v28, v28, 2.0, -v30
	s_waitcnt vmcnt(6) lgkmcnt(2)
	v_mul_f16_sdwa v43, v38, v50 dst_sel:DWORD dst_unused:UNUSED_PAD src0_sel:WORD_1 src1_sel:DWORD
	v_fma_f16 v43, v24, v38, v43
	v_mul_f16_sdwa v24, v24, v38 dst_sel:DWORD dst_unused:UNUSED_PAD src0_sel:DWORD src1_sel:WORD_1
	v_fma_f16 v24, v38, v50, -v24
	s_waitcnt vmcnt(4) lgkmcnt(1)
	v_mul_f16_sdwa v50, v39, v9 dst_sel:DWORD dst_unused:UNUSED_PAD src0_sel:WORD_1 src1_sel:DWORD
	ds_read_u16 v38, v8 offset:3840
	ds_read_u16 v46, v8 offset:3520
	;; [unrolled: 1-line block ×5, first 2 shown]
	v_fma_f16 v50, v21, v39, v50
	v_mul_f16_sdwa v21, v21, v39 dst_sel:DWORD dst_unused:UNUSED_PAD src0_sel:DWORD src1_sel:WORD_1
	v_fma_f16 v9, v39, v9, -v21
	v_sub_f16_e32 v21, v44, v9
	ds_read_u16 v9, v8 offset:4160
	v_fma_f16 v39, v44, 2.0, -v21
	s_waitcnt vmcnt(3) lgkmcnt(1)
	v_mul_f16_sdwa v44, v40, v49 dst_sel:DWORD dst_unused:UNUSED_PAD src0_sel:WORD_1 src1_sel:DWORD
	v_fma_f16 v44, v19, v40, v44
	v_mul_f16_sdwa v19, v19, v40 dst_sel:DWORD dst_unused:UNUSED_PAD src0_sel:DWORD src1_sel:WORD_1
	v_fma_f16 v19, v40, v49, -v19
	ds_read_u16 v40, v8 offset:640
	s_waitcnt vmcnt(2) lgkmcnt(1)
	v_mul_f16_sdwa v49, v41, v9 dst_sel:DWORD dst_unused:UNUSED_PAD src0_sel:WORD_1 src1_sel:DWORD
	v_fma_f16 v49, v17, v41, v49
	v_mul_f16_sdwa v17, v17, v41 dst_sel:DWORD dst_unused:UNUSED_PAD src0_sel:DWORD src1_sel:WORD_1
	v_fma_f16 v9, v41, v9, -v17
	s_waitcnt vmcnt(1)
	v_mul_f16_sdwa v17, v42, v38 dst_sel:DWORD dst_unused:UNUSED_PAD src0_sel:WORD_1 src1_sel:DWORD
	v_fma_f16 v17, v15, v42, v17
	v_mul_f16_sdwa v15, v15, v42 dst_sel:DWORD dst_unused:UNUSED_PAD src0_sel:DWORD src1_sel:WORD_1
	v_fma_f16 v15, v42, v38, -v15
	ds_read_u16 v38, v8 offset:320
	s_waitcnt vmcnt(0)
	v_mul_f16_sdwa v41, v33, v46 dst_sel:DWORD dst_unused:UNUSED_PAD src0_sel:WORD_1 src1_sel:DWORD
	v_fma_f16 v41, v12, v33, v41
	v_mul_f16_sdwa v12, v12, v33 dst_sel:DWORD dst_unused:UNUSED_PAD src0_sel:DWORD src1_sel:WORD_1
	ds_read_u16 v10, v10 offset:960
	ds_read_u16 v8, v8
	v_fma_f16 v12, v33, v46, -v12
	s_waitcnt lgkmcnt(2)
	v_sub_f16_e32 v12, v38, v12
	v_fma_f16 v33, v38, 2.0, -v12
	v_mul_f16_sdwa v38, v1, v47 dst_sel:DWORD dst_unused:UNUSED_PAD src0_sel:WORD_1 src1_sel:DWORD
	v_fma_f16 v38, v13, v1, v38
	v_mul_f16_sdwa v13, v13, v1 dst_sel:DWORD dst_unused:UNUSED_PAD src0_sel:DWORD src1_sel:WORD_1
	v_fma_f16 v1, v1, v47, -v13
	s_waitcnt lgkmcnt(0)
	v_sub_f16_e32 v13, v8, v1
	v_mov_b32_e32 v1, s3
	v_add_co_u32_e32 v42, vcc, s2, v2
	v_sub_f16_e32 v38, v11, v38
	v_addc_co_u32_e32 v46, vcc, v1, v3, vcc
	v_fma_f16 v11, v11, 2.0, -v38
	v_fma_f16 v8, v8, 2.0, -v13
	v_add_co_u32_e32 v1, vcc, v42, v4
	v_addc_co_u32_e32 v2, vcc, v46, v5, vcc
	v_pack_b32_f16 v3, v11, v8
	v_sub_f16_e32 v41, v14, v41
	global_store_dword v[1:2], v3, off
	v_add_co_u32_e32 v3, vcc, s1, v1
	v_fma_f16 v14, v14, 2.0, -v41
	v_pack_b32_f16 v5, v38, v13
	v_addc_co_u32_e32 v4, vcc, 0, v2, vcc
	v_sub_f16_e32 v17, v16, v17
	v_sub_f16_e32 v15, v40, v15
	global_store_dword v[3:4], v5, off offset:2304
	v_pack_b32_f16 v5, v14, v33
	v_fma_f16 v16, v16, 2.0, -v17
	v_fma_f16 v40, v40, 2.0, -v15
	global_store_dword v[1:2], v5, off offset:640
	v_pack_b32_f16 v5, v41, v12
	v_sub_f16_e32 v49, v20, v49
	v_sub_f16_e32 v9, v10, v9
	global_store_dword v[3:4], v5, off offset:2944
	v_pack_b32_f16 v5, v16, v40
	v_fma_f16 v20, v20, 2.0, -v49
	v_fma_f16 v10, v10, 2.0, -v9
	global_store_dword v[1:2], v5, off offset:1280
	v_pack_b32_f16 v5, v17, v15
	global_store_dword v[3:4], v5, off offset:3584
	v_pack_b32_f16 v5, v20, v10
	v_add_u32_e32 v10, 0x320, v0
	s_mov_b32 s1, 0x51eb851f
	v_sub_f16_e32 v44, v18, v44
	v_sub_f16_e32 v19, v48, v19
	v_add_co_u32_e32 v8, vcc, s0, v1
	v_mul_hi_u32 v10, v10, s1
	v_fma_f16 v18, v18, 2.0, -v44
	v_fma_f16 v48, v48, 2.0, -v19
	global_store_dword v[1:2], v5, off offset:1920
	v_pack_b32_f16 v5, v49, v9
	v_addc_co_u32_e32 v9, vcc, 0, v2, vcc
	global_store_dword v[8:9], v5, off offset:128
	v_pack_b32_f16 v5, v18, v48
	global_store_dword v[1:2], v5, off offset:2560
	v_pack_b32_f16 v5, v44, v19
	global_store_dword v[8:9], v5, off offset:768
	v_lshrrev_b32_e32 v5, 9, v10
	v_mul_u32_u24_e32 v10, 0x640, v5
	v_mov_b32_e32 v11, v7
	v_lshlrev_b64 v[10:11], 2, v[10:11]
	v_sub_f16_e32 v50, v23, v50
	v_add_u32_e32 v12, 0x3c0, v0
	v_fma_f16 v23, v23, 2.0, -v50
	v_add_co_u32_e32 v10, vcc, v1, v10
	v_mul_hi_u32 v12, v12, s1
	v_addc_co_u32_e32 v11, vcc, v2, v11, vcc
	v_pack_b32_f16 v5, v23, v39
	global_store_dword v[10:11], v5, off offset:3200
	v_add_co_u32_e32 v10, vcc, s0, v10
	v_pack_b32_f16 v5, v50, v21
	v_addc_co_u32_e32 v11, vcc, 0, v11, vcc
	global_store_dword v[10:11], v5, off offset:1408
	v_lshrrev_b32_e32 v5, 9, v12
	v_mul_u32_u24_e32 v10, 0x640, v5
	v_mov_b32_e32 v11, v7
	v_lshlrev_b64 v[10:11], 2, v[10:11]
	v_sub_f16_e32 v43, v22, v43
	v_sub_f16_e32 v24, v45, v24
	v_fma_f16 v22, v22, 2.0, -v43
	v_fma_f16 v45, v45, 2.0, -v24
	v_add_co_u32_e32 v1, vcc, v1, v10
	v_addc_co_u32_e32 v2, vcc, v2, v11, vcc
	v_pack_b32_f16 v5, v22, v45
	global_store_dword v[1:2], v5, off offset:3840
	v_add_co_u32_e32 v1, vcc, s0, v1
	v_pack_b32_f16 v5, v43, v24
	v_addc_co_u32_e32 v2, vcc, 0, v2, vcc
	global_store_dword v[1:2], v5, off offset:2048
	v_pack_b32_f16 v1, v25, v37
	global_store_dword v[3:4], v1, off offset:384
	v_pack_b32_f16 v1, v26, v35
	global_store_dword v[8:9], v1, off offset:2688
	v_or_b32_e32 v0, 0x500, v0
	v_mov_b32_e32 v1, v7
	v_lshlrev_b64 v[0:1], 2, v[0:1]
	v_mul_hi_u32 v3, v6, s1
	v_add_co_u32_e32 v0, vcc, v42, v0
	v_addc_co_u32_e32 v1, vcc, v46, v1, vcc
	v_pack_b32_f16 v2, v27, v36
	global_store_dword v[0:1], v2, off
	v_pack_b32_f16 v0, v29, v32
	s_movk_i32 s2, 0x640
	global_store_dword v[8:9], v0, off offset:3328
	v_lshrrev_b32_e32 v0, 9, v3
	v_mad_u32_u24 v6, v0, s2, v6
	v_lshlrev_b64 v[0:1], 2, v[6:7]
	v_fma_f16 v34, v34, 2.0, -v31
	v_add_co_u32_e32 v0, vcc, v42, v0
	v_addc_co_u32_e32 v1, vcc, v46, v1, vcc
	v_pack_b32_f16 v2, v28, v34
	global_store_dword v[0:1], v2, off
	v_add_co_u32_e32 v0, vcc, 0x1000, v0
	v_pack_b32_f16 v2, v30, v31
	v_addc_co_u32_e32 v1, vcc, 0, v1, vcc
	global_store_dword v[0:1], v2, off offset:2304
.LBB0_15:
	s_endpgm
	.section	.rodata,"a",@progbits
	.p2align	6, 0x0
	.amdhsa_kernel fft_rtc_back_len3200_factors_10_10_4_4_2_wgs_160_tpt_160_halfLds_half_ip_CI_unitstride_sbrr_dirReg
		.amdhsa_group_segment_fixed_size 0
		.amdhsa_private_segment_fixed_size 0
		.amdhsa_kernarg_size 88
		.amdhsa_user_sgpr_count 6
		.amdhsa_user_sgpr_private_segment_buffer 1
		.amdhsa_user_sgpr_dispatch_ptr 0
		.amdhsa_user_sgpr_queue_ptr 0
		.amdhsa_user_sgpr_kernarg_segment_ptr 1
		.amdhsa_user_sgpr_dispatch_id 0
		.amdhsa_user_sgpr_flat_scratch_init 0
		.amdhsa_user_sgpr_private_segment_size 0
		.amdhsa_uses_dynamic_stack 0
		.amdhsa_system_sgpr_private_segment_wavefront_offset 0
		.amdhsa_system_sgpr_workgroup_id_x 1
		.amdhsa_system_sgpr_workgroup_id_y 0
		.amdhsa_system_sgpr_workgroup_id_z 0
		.amdhsa_system_sgpr_workgroup_info 0
		.amdhsa_system_vgpr_workitem_id 0
		.amdhsa_next_free_vgpr 66
		.amdhsa_next_free_sgpr 22
		.amdhsa_reserve_vcc 1
		.amdhsa_reserve_flat_scratch 0
		.amdhsa_float_round_mode_32 0
		.amdhsa_float_round_mode_16_64 0
		.amdhsa_float_denorm_mode_32 3
		.amdhsa_float_denorm_mode_16_64 3
		.amdhsa_dx10_clamp 1
		.amdhsa_ieee_mode 1
		.amdhsa_fp16_overflow 0
		.amdhsa_exception_fp_ieee_invalid_op 0
		.amdhsa_exception_fp_denorm_src 0
		.amdhsa_exception_fp_ieee_div_zero 0
		.amdhsa_exception_fp_ieee_overflow 0
		.amdhsa_exception_fp_ieee_underflow 0
		.amdhsa_exception_fp_ieee_inexact 0
		.amdhsa_exception_int_div_zero 0
	.end_amdhsa_kernel
	.text
.Lfunc_end0:
	.size	fft_rtc_back_len3200_factors_10_10_4_4_2_wgs_160_tpt_160_halfLds_half_ip_CI_unitstride_sbrr_dirReg, .Lfunc_end0-fft_rtc_back_len3200_factors_10_10_4_4_2_wgs_160_tpt_160_halfLds_half_ip_CI_unitstride_sbrr_dirReg
                                        ; -- End function
	.section	.AMDGPU.csdata,"",@progbits
; Kernel info:
; codeLenInByte = 12600
; NumSgprs: 26
; NumVgprs: 66
; ScratchSize: 0
; MemoryBound: 0
; FloatMode: 240
; IeeeMode: 1
; LDSByteSize: 0 bytes/workgroup (compile time only)
; SGPRBlocks: 3
; VGPRBlocks: 16
; NumSGPRsForWavesPerEU: 26
; NumVGPRsForWavesPerEU: 66
; Occupancy: 3
; WaveLimiterHint : 1
; COMPUTE_PGM_RSRC2:SCRATCH_EN: 0
; COMPUTE_PGM_RSRC2:USER_SGPR: 6
; COMPUTE_PGM_RSRC2:TRAP_HANDLER: 0
; COMPUTE_PGM_RSRC2:TGID_X_EN: 1
; COMPUTE_PGM_RSRC2:TGID_Y_EN: 0
; COMPUTE_PGM_RSRC2:TGID_Z_EN: 0
; COMPUTE_PGM_RSRC2:TIDIG_COMP_CNT: 0
	.type	__hip_cuid_7db6b2e3f519310b,@object ; @__hip_cuid_7db6b2e3f519310b
	.section	.bss,"aw",@nobits
	.globl	__hip_cuid_7db6b2e3f519310b
__hip_cuid_7db6b2e3f519310b:
	.byte	0                               ; 0x0
	.size	__hip_cuid_7db6b2e3f519310b, 1

	.ident	"AMD clang version 19.0.0git (https://github.com/RadeonOpenCompute/llvm-project roc-6.4.0 25133 c7fe45cf4b819c5991fe208aaa96edf142730f1d)"
	.section	".note.GNU-stack","",@progbits
	.addrsig
	.addrsig_sym __hip_cuid_7db6b2e3f519310b
	.amdgpu_metadata
---
amdhsa.kernels:
  - .args:
      - .actual_access:  read_only
        .address_space:  global
        .offset:         0
        .size:           8
        .value_kind:     global_buffer
      - .offset:         8
        .size:           8
        .value_kind:     by_value
      - .actual_access:  read_only
        .address_space:  global
        .offset:         16
        .size:           8
        .value_kind:     global_buffer
      - .actual_access:  read_only
        .address_space:  global
        .offset:         24
        .size:           8
        .value_kind:     global_buffer
      - .offset:         32
        .size:           8
        .value_kind:     by_value
      - .actual_access:  read_only
        .address_space:  global
        .offset:         40
        .size:           8
        .value_kind:     global_buffer
      - .actual_access:  read_only
        .address_space:  global
        .offset:         48
        .size:           8
        .value_kind:     global_buffer
      - .offset:         56
        .size:           4
        .value_kind:     by_value
      - .actual_access:  read_only
        .address_space:  global
        .offset:         64
        .size:           8
        .value_kind:     global_buffer
      - .actual_access:  read_only
        .address_space:  global
        .offset:         72
        .size:           8
        .value_kind:     global_buffer
      - .address_space:  global
        .offset:         80
        .size:           8
        .value_kind:     global_buffer
    .group_segment_fixed_size: 0
    .kernarg_segment_align: 8
    .kernarg_segment_size: 88
    .language:       OpenCL C
    .language_version:
      - 2
      - 0
    .max_flat_workgroup_size: 160
    .name:           fft_rtc_back_len3200_factors_10_10_4_4_2_wgs_160_tpt_160_halfLds_half_ip_CI_unitstride_sbrr_dirReg
    .private_segment_fixed_size: 0
    .sgpr_count:     26
    .sgpr_spill_count: 0
    .symbol:         fft_rtc_back_len3200_factors_10_10_4_4_2_wgs_160_tpt_160_halfLds_half_ip_CI_unitstride_sbrr_dirReg.kd
    .uniform_work_group_size: 1
    .uses_dynamic_stack: false
    .vgpr_count:     66
    .vgpr_spill_count: 0
    .wavefront_size: 64
amdhsa.target:   amdgcn-amd-amdhsa--gfx906
amdhsa.version:
  - 1
  - 2
...

	.end_amdgpu_metadata
